;; amdgpu-corpus repo=pytorch/pytorch kind=compiled arch=gfx1250 opt=O3
	.amdgcn_target "amdgcn-amd-amdhsa--gfx1250"
	.amdhsa_code_object_version 6
	.section	.text._ZN2at6native12_GLOBAL__N_137multilabel_margin_loss_forward_kernelIddEEvPT_PKS3_PKlS4_iib,"axG",@progbits,_ZN2at6native12_GLOBAL__N_137multilabel_margin_loss_forward_kernelIddEEvPT_PKS3_PKlS4_iib,comdat
	.globl	_ZN2at6native12_GLOBAL__N_137multilabel_margin_loss_forward_kernelIddEEvPT_PKS3_PKlS4_iib ; -- Begin function _ZN2at6native12_GLOBAL__N_137multilabel_margin_loss_forward_kernelIddEEvPT_PKS3_PKlS4_iib
	.p2align	8
	.type	_ZN2at6native12_GLOBAL__N_137multilabel_margin_loss_forward_kernelIddEEvPT_PKS3_PKlS4_iib,@function
_ZN2at6native12_GLOBAL__N_137multilabel_margin_loss_forward_kernelIddEEvPT_PKS3_PKlS4_iib: ; @_ZN2at6native12_GLOBAL__N_137multilabel_margin_loss_forward_kernelIddEEvPT_PKS3_PKlS4_iib
; %bb.0:
	s_clause 0x1
	s_load_b96 s[12:14], s[0:1], 0x20
	s_load_b256 s[4:11], s[0:1], 0x0
	s_bfe_u32 s2, ttmp6, 0x4000c
	s_and_b32 s3, ttmp6, 15
	s_add_co_i32 s2, s2, 1
	s_getreg_b32 s15, hwreg(HW_REG_IB_STS2, 6, 4)
	s_mul_i32 s2, ttmp9, s2
	s_mov_b32 s18, exec_lo
	s_add_co_i32 s3, s3, s2
	s_cmp_eq_u32 s15, 0
	s_mov_b32 s2, 0
	s_cselect_b32 s15, ttmp9, s3
	s_wait_kmcnt 0x0
	s_mul_i32 s16, s13, s15
	v_cmp_le_i32_e64 s3, s13, v0
	s_ashr_i32 s17, s16, 31
	s_delay_alu instid0(SALU_CYCLE_1) | instskip(NEXT) | instid1(SALU_CYCLE_1)
	s_lshl_b64 s[16:17], s[16:17], 3
	s_add_nc_u64 s[10:11], s[10:11], s[16:17]
	v_cmpx_gt_i32_e64 s13, v0
	s_cbranch_execz .LBB0_3
; %bb.1:
	s_load_b32 s19, s[0:1], 0x3c
	v_mov_b64_e32 v[2:3], 0
	v_mov_b32_e32 v1, v0
	s_wait_kmcnt 0x0
	s_and_b32 s19, s19, 0xffff
.LBB0_2:                                ; =>This Inner Loop Header: Depth=1
	global_store_b64 v1, v[2:3], s[10:11] scale_offset
	s_wait_xcnt 0x0
	v_add_nc_u32_e32 v1, s19, v1
	s_delay_alu instid0(VALU_DEP_1) | instskip(SKIP_1) | instid1(SALU_CYCLE_1)
	v_cmp_le_i32_e32 vcc_lo, s13, v1
	s_or_b32 s2, vcc_lo, s2
	s_and_not1_b32 exec_lo, exec_lo, s2
	s_cbranch_execnz .LBB0_2
.LBB0_3:
	s_or_b32 exec_lo, exec_lo, s18
	v_cmp_eq_u32_e64 s2, 0, v0
	s_cmp_gt_i32 s13, 0
	s_add_nc_u64 s[8:9], s[8:9], s[16:17]
	s_cselect_b32 s22, -1, 0
	s_wait_storecnt 0x0
	s_and_b32 s18, s2, s22
	s_barrier_signal -1
	s_barrier_wait -1
	s_and_saveexec_b32 s23, s18
	s_cbranch_execz .LBB0_8
; %bb.4:
	v_mov_b64_e32 v[2:3], 1.0
	v_mov_b32_e32 v1, 0
	s_mov_b64 s[18:19], s[8:9]
	s_mov_b32 s24, s13
	s_branch .LBB0_6
.LBB0_5:                                ;   in Loop: Header=BB0_6 Depth=1
	s_and_not1_b32 vcc_lo, exec_lo, s25
	s_cbranch_vccz .LBB0_8
.LBB0_6:                                ; =>This Inner Loop Header: Depth=1
	s_wait_xcnt 0x0
	s_load_b64 s[20:21], s[18:19], 0x0
	s_mov_b32 s25, -1
	s_wait_kmcnt 0x0
	s_bitcmp1_b64 s[20:21], 31
	s_cbranch_scc1 .LBB0_5
; %bb.7:                                ;   in Loop: Header=BB0_6 Depth=1
	s_and_b64 s[20:21], s[20:21], 0x7fffffff
	s_add_co_i32 s24, s24, -1
	s_lshl_b64 s[20:21], s[20:21], 3
	s_cmp_eq_u32 s24, 0
	s_add_nc_u64 s[20:21], s[10:11], s[20:21]
	s_wait_xcnt 0x0
	s_add_nc_u64 s[18:19], s[18:19], 8
	s_cselect_b32 s25, -1, 0
	global_store_b64 v1, v[2:3], s[20:21]
	s_branch .LBB0_5
.LBB0_8:
	s_wait_xcnt 0x0
	s_or_b32 exec_lo, exec_lo, s23
	v_mov_b64_e32 v[2:3], 0
	s_and_not1_b32 vcc_lo, exec_lo, s22
	s_wait_storecnt 0x0
	s_barrier_signal -1
	s_barrier_wait -1
	s_cbranch_vccnz .LBB0_17
; %bb.9:
	v_mov_b32_e32 v1, 0
	s_add_nc_u64 s[6:7], s[6:7], s[16:17]
	s_add_nc_u64 s[16:17], s[0:1], 48
	s_mov_b32 s20, 0
	s_branch .LBB0_12
.LBB0_10:                               ;   in Loop: Header=BB0_12 Depth=1
	s_or_b32 exec_lo, exec_lo, s18
.LBB0_11:                               ;   in Loop: Header=BB0_12 Depth=1
	s_delay_alu instid0(SALU_CYCLE_1) | instskip(SKIP_1) | instid1(SALU_CYCLE_1)
	s_or_b32 exec_lo, exec_lo, s22
	s_add_co_i32 s20, s20, 1
	s_cmp_eq_u32 s20, s13
	s_cselect_b32 s18, -1, 0
	s_delay_alu instid0(SALU_CYCLE_1) | instskip(NEXT) | instid1(SALU_CYCLE_1)
	s_or_b32 s18, s21, s18
	s_and_not1_b32 vcc_lo, exec_lo, s18
	s_cbranch_vccz .LBB0_17
.LBB0_12:                               ; =>This Loop Header: Depth=1
                                        ;     Child Loop BB0_15 Depth 2
	s_load_b64 s[18:19], s[8:9], s20 offset:0x0 scale_offset
	s_wait_kmcnt 0x0
	s_bitcmp1_b32 s18, 31
	s_cselect_b32 s21, -1, 0
	s_delay_alu instid0(SALU_CYCLE_1) | instskip(NEXT) | instid1(SALU_CYCLE_1)
	s_nor_b32 s23, s21, s3
	s_and_saveexec_b32 s22, s23
	s_cbranch_execz .LBB0_11
; %bb.13:                               ;   in Loop: Header=BB0_12 Depth=1
	s_and_b64 s[18:19], s[18:19], 0x7fffffff
	v_mov_b32_e32 v6, v0
	s_lshl_b64 s[18:19], s[18:19], 3
	s_delay_alu instid0(SALU_CYCLE_1)
	s_add_nc_u64 s[18:19], s[6:7], s[18:19]
	global_load_b64 v[4:5], v1, s[18:19]
	s_wait_xcnt 0x0
	s_load_b32 s18, s[16:17], 0xc
	s_wait_kmcnt 0x0
	s_and_b32 s19, s18, 0xffff
	s_mov_b32 s18, 0
	s_wait_loadcnt 0x0
	v_add_f64_e64 v[4:5], -v[4:5], 1.0
	s_branch .LBB0_15
.LBB0_14:                               ;   in Loop: Header=BB0_15 Depth=2
	s_or_b32 exec_lo, exec_lo, s23
	v_add_nc_u32_e32 v6, s19, v6
	s_delay_alu instid0(VALU_DEP_1) | instskip(SKIP_1) | instid1(SALU_CYCLE_1)
	v_cmp_le_i32_e32 vcc_lo, s13, v6
	s_or_b32 s18, vcc_lo, s18
	s_and_not1_b32 exec_lo, exec_lo, s18
	s_cbranch_execz .LBB0_10
.LBB0_15:                               ;   Parent Loop BB0_12 Depth=1
                                        ; =>  This Inner Loop Header: Depth=2
	global_load_b64 v[8:9], v6, s[10:11] scale_offset
	v_ashrrev_i32_e32 v7, 31, v6
	s_mov_b32 s23, exec_lo
	s_wait_loadcnt 0x0
	v_cvt_i32_f64_e32 v8, v[8:9]
	s_delay_alu instid0(VALU_DEP_1)
	v_cmpx_eq_u32_e32 0, v8
	s_cbranch_execz .LBB0_14
; %bb.16:                               ;   in Loop: Header=BB0_15 Depth=2
	v_lshl_add_u64 v[8:9], v[6:7], 3, s[6:7]
	global_load_b64 v[8:9], v[8:9], off
	s_wait_loadcnt 0x0
	v_add_f64_e32 v[8:9], v[4:5], v[8:9]
	s_delay_alu instid0(VALU_DEP_1) | instskip(SKIP_1) | instid1(VALU_DEP_2)
	v_add_f64_e32 v[10:11], v[2:3], v[8:9]
	v_cmp_lt_f64_e32 vcc_lo, 0, v[8:9]
	v_dual_cndmask_b32 v3, v3, v11 :: v_dual_cndmask_b32 v2, v2, v10
	s_branch .LBB0_14
.LBB0_17:
	v_mbcnt_lo_u32_b32 v9, -1, 0
	v_and_b32_e32 v10, 31, v0
	s_mov_b32 s3, exec_lo
	s_barrier_signal -1
	s_delay_alu instid0(VALU_DEP_2)
	v_lshl_or_b32 v1, v9, 2, 64
	v_cmp_gt_u32_e32 vcc_lo, 24, v9
	s_barrier_wait -1
	ds_bpermute_b32 v4, v1, v2
	ds_bpermute_b32 v5, v1, v3
	s_wait_dscnt 0x0
	v_add_f64_e32 v[2:3], v[2:3], v[4:5]
	v_cndmask_b32_e64 v4, 0, 8, vcc_lo
	v_cmp_gt_u32_e32 vcc_lo, 28, v9
	s_delay_alu instid0(VALU_DEP_2)
	v_add_lshl_u32 v6, v4, v9, 2
	ds_bpermute_b32 v4, v6, v2
	ds_bpermute_b32 v5, v6, v3
	s_wait_dscnt 0x0
	v_add_f64_e32 v[2:3], v[2:3], v[4:5]
	v_cndmask_b32_e64 v4, 0, 4, vcc_lo
	v_cmp_gt_u32_e32 vcc_lo, 30, v9
	s_delay_alu instid0(VALU_DEP_2)
	v_add_lshl_u32 v7, v4, v9, 2
	ds_bpermute_b32 v4, v7, v2
	ds_bpermute_b32 v5, v7, v3
	s_wait_dscnt 0x0
	v_add_f64_e32 v[2:3], v[2:3], v[4:5]
	v_cndmask_b32_e64 v4, 0, 2, vcc_lo
	v_cmp_ne_u32_e32 vcc_lo, 31, v9
	s_delay_alu instid0(VALU_DEP_2)
	v_add_lshl_u32 v8, v4, v9, 2
	ds_bpermute_b32 v4, v8, v2
	ds_bpermute_b32 v5, v8, v3
	s_wait_dscnt 0x0
	v_add_f64_e32 v[2:3], v[2:3], v[4:5]
	v_add_co_ci_u32_e64 v4, null, 0, v9, vcc_lo
	s_delay_alu instid0(VALU_DEP_1)
	v_lshlrev_b32_e32 v9, 2, v4
	ds_bpermute_b32 v4, v9, v2
	ds_bpermute_b32 v5, v9, v3
	v_cmpx_eq_u32_e32 0, v10
	s_cbranch_execz .LBB0_19
; %bb.18:
	s_wait_dscnt 0x0
	v_add_f64_e32 v[2:3], v[2:3], v[4:5]
	v_lshrrev_b32_e32 v4, 2, v0
	ds_store_b64 v4, v[2:3]
.LBB0_19:
	s_or_b32 exec_lo, exec_lo, s3
	s_wait_dscnt 0x0
	s_barrier_signal -1
	s_barrier_wait -1
	s_load_b32 s0, s[0:1], 0x3c
	v_mov_b64_e32 v[2:3], 0
	s_wait_kmcnt 0x0
	s_bfe_u32 s0, s0, 0xb0005
	s_delay_alu instid0(SALU_CYCLE_1)
	v_cmp_gt_u32_e32 vcc_lo, s0, v0
	s_and_saveexec_b32 s0, vcc_lo
; %bb.20:
	v_lshlrev_b32_e32 v2, 3, v10
	ds_load_b64 v[2:3], v2
; %bb.21:
	s_or_b32 exec_lo, exec_lo, s0
	s_delay_alu instid0(SALU_CYCLE_1)
	s_mov_b32 s0, exec_lo
	v_cmpx_gt_u32_e32 32, v0
	s_cbranch_execnz .LBB0_24
; %bb.22:
	s_or_b32 exec_lo, exec_lo, s0
	s_and_saveexec_b32 s0, s2
	s_cbranch_execnz .LBB0_25
.LBB0_23:
	s_endpgm
.LBB0_24:
	s_wait_dscnt 0x0
	ds_bpermute_b32 v0, v1, v2
	ds_bpermute_b32 v1, v1, v3
	s_wait_dscnt 0x0
	v_add_f64_e32 v[0:1], v[2:3], v[0:1]
	ds_bpermute_b32 v2, v6, v0
	ds_bpermute_b32 v3, v6, v1
	s_wait_dscnt 0x0
	v_add_f64_e32 v[0:1], v[0:1], v[2:3]
	;; [unrolled: 4-line block ×5, first 2 shown]
	s_or_b32 exec_lo, exec_lo, s0
	s_and_saveexec_b32 s0, s2
	s_cbranch_execz .LBB0_23
.LBB0_25:
	v_cvt_f64_i32_e32 v[0:1], s13
	s_bitcmp0_b32 s14, 0
	s_wait_dscnt 0x0
	s_delay_alu instid0(VALU_DEP_1) | instskip(NEXT) | instid1(VALU_DEP_1)
	v_div_scale_f64 v[4:5], null, v[0:1], v[0:1], v[2:3]
	v_rcp_f64_e32 v[6:7], v[4:5]
	v_nop
	s_delay_alu instid0(TRANS32_DEP_1) | instskip(NEXT) | instid1(VALU_DEP_1)
	v_fma_f64 v[8:9], -v[4:5], v[6:7], 1.0
	v_fmac_f64_e32 v[6:7], v[6:7], v[8:9]
	s_delay_alu instid0(VALU_DEP_1) | instskip(NEXT) | instid1(VALU_DEP_1)
	v_fma_f64 v[8:9], -v[4:5], v[6:7], 1.0
	v_fmac_f64_e32 v[6:7], v[6:7], v[8:9]
	v_div_scale_f64 v[8:9], vcc_lo, v[2:3], v[0:1], v[2:3]
	s_delay_alu instid0(VALU_DEP_1) | instskip(NEXT) | instid1(VALU_DEP_1)
	v_mul_f64_e32 v[10:11], v[8:9], v[6:7]
	v_fma_f64 v[4:5], -v[4:5], v[10:11], v[8:9]
	s_delay_alu instid0(VALU_DEP_1) | instskip(NEXT) | instid1(VALU_DEP_1)
	v_div_fmas_f64 v[4:5], v[4:5], v[6:7], v[10:11]
	v_div_fixup_f64 v[0:1], v[4:5], v[0:1], v[2:3]
	s_cbranch_scc1 .LBB0_27
; %bb.26:
	v_cvt_f64_i32_e32 v[2:3], s12
	s_delay_alu instid0(VALU_DEP_1) | instskip(NEXT) | instid1(VALU_DEP_1)
	v_div_scale_f64 v[4:5], null, v[2:3], v[2:3], v[0:1]
	v_rcp_f64_e32 v[6:7], v[4:5]
	v_nop
	s_delay_alu instid0(TRANS32_DEP_1) | instskip(NEXT) | instid1(VALU_DEP_1)
	v_fma_f64 v[8:9], -v[4:5], v[6:7], 1.0
	v_fmac_f64_e32 v[6:7], v[6:7], v[8:9]
	s_delay_alu instid0(VALU_DEP_1) | instskip(NEXT) | instid1(VALU_DEP_1)
	v_fma_f64 v[8:9], -v[4:5], v[6:7], 1.0
	v_fmac_f64_e32 v[6:7], v[6:7], v[8:9]
	v_div_scale_f64 v[8:9], vcc_lo, v[0:1], v[2:3], v[0:1]
	s_delay_alu instid0(VALU_DEP_1) | instskip(NEXT) | instid1(VALU_DEP_1)
	v_mul_f64_e32 v[10:11], v[8:9], v[6:7]
	v_fma_f64 v[4:5], -v[4:5], v[10:11], v[8:9]
	s_delay_alu instid0(VALU_DEP_1) | instskip(NEXT) | instid1(VALU_DEP_1)
	v_div_fmas_f64 v[4:5], v[4:5], v[6:7], v[10:11]
	v_div_fixup_f64 v[0:1], v[4:5], v[2:3], v[0:1]
.LBB0_27:
	v_mov_b32_e32 v2, s15
	global_store_b64 v2, v[0:1], s[4:5] scale_offset
	s_endpgm
	.section	.rodata,"a",@progbits
	.p2align	6, 0x0
	.amdhsa_kernel _ZN2at6native12_GLOBAL__N_137multilabel_margin_loss_forward_kernelIddEEvPT_PKS3_PKlS4_iib
		.amdhsa_group_segment_fixed_size 1024
		.amdhsa_private_segment_fixed_size 0
		.amdhsa_kernarg_size 304
		.amdhsa_user_sgpr_count 2
		.amdhsa_user_sgpr_dispatch_ptr 0
		.amdhsa_user_sgpr_queue_ptr 0
		.amdhsa_user_sgpr_kernarg_segment_ptr 1
		.amdhsa_user_sgpr_dispatch_id 0
		.amdhsa_user_sgpr_kernarg_preload_length 0
		.amdhsa_user_sgpr_kernarg_preload_offset 0
		.amdhsa_user_sgpr_private_segment_size 0
		.amdhsa_wavefront_size32 1
		.amdhsa_uses_dynamic_stack 0
		.amdhsa_enable_private_segment 0
		.amdhsa_system_sgpr_workgroup_id_x 1
		.amdhsa_system_sgpr_workgroup_id_y 0
		.amdhsa_system_sgpr_workgroup_id_z 0
		.amdhsa_system_sgpr_workgroup_info 0
		.amdhsa_system_vgpr_workitem_id 0
		.amdhsa_next_free_vgpr 12
		.amdhsa_next_free_sgpr 26
		.amdhsa_named_barrier_count 0
		.amdhsa_reserve_vcc 1
		.amdhsa_float_round_mode_32 0
		.amdhsa_float_round_mode_16_64 0
		.amdhsa_float_denorm_mode_32 3
		.amdhsa_float_denorm_mode_16_64 3
		.amdhsa_fp16_overflow 0
		.amdhsa_memory_ordered 1
		.amdhsa_forward_progress 1
		.amdhsa_inst_pref_size 11
		.amdhsa_round_robin_scheduling 0
		.amdhsa_exception_fp_ieee_invalid_op 0
		.amdhsa_exception_fp_denorm_src 0
		.amdhsa_exception_fp_ieee_div_zero 0
		.amdhsa_exception_fp_ieee_overflow 0
		.amdhsa_exception_fp_ieee_underflow 0
		.amdhsa_exception_fp_ieee_inexact 0
		.amdhsa_exception_int_div_zero 0
	.end_amdhsa_kernel
	.section	.text._ZN2at6native12_GLOBAL__N_137multilabel_margin_loss_forward_kernelIddEEvPT_PKS3_PKlS4_iib,"axG",@progbits,_ZN2at6native12_GLOBAL__N_137multilabel_margin_loss_forward_kernelIddEEvPT_PKS3_PKlS4_iib,comdat
.Lfunc_end0:
	.size	_ZN2at6native12_GLOBAL__N_137multilabel_margin_loss_forward_kernelIddEEvPT_PKS3_PKlS4_iib, .Lfunc_end0-_ZN2at6native12_GLOBAL__N_137multilabel_margin_loss_forward_kernelIddEEvPT_PKS3_PKlS4_iib
                                        ; -- End function
	.set _ZN2at6native12_GLOBAL__N_137multilabel_margin_loss_forward_kernelIddEEvPT_PKS3_PKlS4_iib.num_vgpr, 12
	.set _ZN2at6native12_GLOBAL__N_137multilabel_margin_loss_forward_kernelIddEEvPT_PKS3_PKlS4_iib.num_agpr, 0
	.set _ZN2at6native12_GLOBAL__N_137multilabel_margin_loss_forward_kernelIddEEvPT_PKS3_PKlS4_iib.numbered_sgpr, 26
	.set _ZN2at6native12_GLOBAL__N_137multilabel_margin_loss_forward_kernelIddEEvPT_PKS3_PKlS4_iib.num_named_barrier, 0
	.set _ZN2at6native12_GLOBAL__N_137multilabel_margin_loss_forward_kernelIddEEvPT_PKS3_PKlS4_iib.private_seg_size, 0
	.set _ZN2at6native12_GLOBAL__N_137multilabel_margin_loss_forward_kernelIddEEvPT_PKS3_PKlS4_iib.uses_vcc, 1
	.set _ZN2at6native12_GLOBAL__N_137multilabel_margin_loss_forward_kernelIddEEvPT_PKS3_PKlS4_iib.uses_flat_scratch, 0
	.set _ZN2at6native12_GLOBAL__N_137multilabel_margin_loss_forward_kernelIddEEvPT_PKS3_PKlS4_iib.has_dyn_sized_stack, 0
	.set _ZN2at6native12_GLOBAL__N_137multilabel_margin_loss_forward_kernelIddEEvPT_PKS3_PKlS4_iib.has_recursion, 0
	.set _ZN2at6native12_GLOBAL__N_137multilabel_margin_loss_forward_kernelIddEEvPT_PKS3_PKlS4_iib.has_indirect_call, 0
	.section	.AMDGPU.csdata,"",@progbits
; Kernel info:
; codeLenInByte = 1396
; TotalNumSgprs: 28
; NumVgprs: 12
; ScratchSize: 0
; MemoryBound: 0
; FloatMode: 240
; IeeeMode: 1
; LDSByteSize: 1024 bytes/workgroup (compile time only)
; SGPRBlocks: 0
; VGPRBlocks: 0
; NumSGPRsForWavesPerEU: 28
; NumVGPRsForWavesPerEU: 12
; NamedBarCnt: 0
; Occupancy: 16
; WaveLimiterHint : 1
; COMPUTE_PGM_RSRC2:SCRATCH_EN: 0
; COMPUTE_PGM_RSRC2:USER_SGPR: 2
; COMPUTE_PGM_RSRC2:TRAP_HANDLER: 0
; COMPUTE_PGM_RSRC2:TGID_X_EN: 1
; COMPUTE_PGM_RSRC2:TGID_Y_EN: 0
; COMPUTE_PGM_RSRC2:TGID_Z_EN: 0
; COMPUTE_PGM_RSRC2:TIDIG_COMP_CNT: 0
	.section	.text._ZN2at6native12_GLOBAL__N_137multilabel_margin_loss_forward_kernelIffEEvPT_PKS3_PKlS4_iib,"axG",@progbits,_ZN2at6native12_GLOBAL__N_137multilabel_margin_loss_forward_kernelIffEEvPT_PKS3_PKlS4_iib,comdat
	.globl	_ZN2at6native12_GLOBAL__N_137multilabel_margin_loss_forward_kernelIffEEvPT_PKS3_PKlS4_iib ; -- Begin function _ZN2at6native12_GLOBAL__N_137multilabel_margin_loss_forward_kernelIffEEvPT_PKS3_PKlS4_iib
	.p2align	8
	.type	_ZN2at6native12_GLOBAL__N_137multilabel_margin_loss_forward_kernelIffEEvPT_PKS3_PKlS4_iib,@function
_ZN2at6native12_GLOBAL__N_137multilabel_margin_loss_forward_kernelIffEEvPT_PKS3_PKlS4_iib: ; @_ZN2at6native12_GLOBAL__N_137multilabel_margin_loss_forward_kernelIffEEvPT_PKS3_PKlS4_iib
; %bb.0:
	s_clause 0x1
	s_load_b96 s[12:14], s[0:1], 0x20
	s_load_b256 s[4:11], s[0:1], 0x0
	s_bfe_u32 s2, ttmp6, 0x4000c
	s_and_b32 s3, ttmp6, 15
	s_add_co_i32 s2, s2, 1
	s_getreg_b32 s15, hwreg(HW_REG_IB_STS2, 6, 4)
	s_mul_i32 s2, ttmp9, s2
	s_mov_b32 s20, exec_lo
	s_add_co_i32 s3, s3, s2
	s_cmp_eq_u32 s15, 0
	s_mov_b32 s2, 0
	s_cselect_b32 s15, ttmp9, s3
	s_wait_kmcnt 0x0
	s_mul_i32 s18, s13, s15
	v_cmp_le_i32_e64 s3, s13, v0
	s_ashr_i32 s19, s18, 31
	s_delay_alu instid0(SALU_CYCLE_1) | instskip(NEXT) | instid1(SALU_CYCLE_1)
	s_lshl_b64 s[16:17], s[18:19], 2
	s_add_nc_u64 s[10:11], s[10:11], s[16:17]
	v_cmpx_gt_i32_e64 s13, v0
	s_cbranch_execz .LBB1_3
; %bb.1:
	s_load_b32 s21, s[0:1], 0x3c
	v_dual_mov_b32 v1, 0 :: v_dual_mov_b32 v2, v0
	s_wait_kmcnt 0x0
	s_and_b32 s21, s21, 0xffff
.LBB1_2:                                ; =>This Inner Loop Header: Depth=1
	global_store_b32 v2, v1, s[10:11] scale_offset
	s_wait_xcnt 0x0
	v_add_nc_u32_e32 v2, s21, v2
	s_delay_alu instid0(VALU_DEP_1) | instskip(SKIP_1) | instid1(SALU_CYCLE_1)
	v_cmp_le_i32_e32 vcc_lo, s13, v2
	s_or_b32 s2, vcc_lo, s2
	s_and_not1_b32 exec_lo, exec_lo, s2
	s_cbranch_execnz .LBB1_2
.LBB1_3:
	s_or_b32 exec_lo, exec_lo, s20
	s_lshl_b64 s[18:19], s[18:19], 3
	v_cmp_eq_u32_e64 s2, 0, v0
	s_cmp_gt_i32 s13, 0
	s_add_nc_u64 s[8:9], s[8:9], s[18:19]
	s_cselect_b32 s22, -1, 0
	s_wait_storecnt 0x0
	s_and_b32 s18, s2, s22
	s_barrier_signal -1
	s_barrier_wait -1
	s_and_saveexec_b32 s23, s18
	s_cbranch_execz .LBB1_8
; %bb.4:
	v_dual_mov_b32 v1, 0 :: v_dual_mov_b32 v2, 1.0
	s_mov_b64 s[18:19], s[8:9]
	s_mov_b32 s24, s13
	s_branch .LBB1_6
.LBB1_5:                                ;   in Loop: Header=BB1_6 Depth=1
	s_and_not1_b32 vcc_lo, exec_lo, s25
	s_cbranch_vccz .LBB1_8
.LBB1_6:                                ; =>This Inner Loop Header: Depth=1
	s_wait_xcnt 0x0
	s_load_b64 s[20:21], s[18:19], 0x0
	s_mov_b32 s25, -1
	s_wait_kmcnt 0x0
	s_bitcmp1_b64 s[20:21], 31
	s_cbranch_scc1 .LBB1_5
; %bb.7:                                ;   in Loop: Header=BB1_6 Depth=1
	s_and_b64 s[20:21], s[20:21], 0x7fffffff
	s_add_co_i32 s24, s24, -1
	s_lshl_b64 s[20:21], s[20:21], 2
	s_cmp_eq_u32 s24, 0
	s_add_nc_u64 s[20:21], s[10:11], s[20:21]
	s_wait_xcnt 0x0
	s_add_nc_u64 s[18:19], s[18:19], 8
	s_cselect_b32 s25, -1, 0
	global_store_b32 v1, v2, s[20:21]
	s_branch .LBB1_5
.LBB1_8:
	s_wait_xcnt 0x0
	s_or_b32 exec_lo, exec_lo, s23
	s_delay_alu instid0(SALU_CYCLE_1)
	s_and_not1_b32 vcc_lo, exec_lo, s22
	s_wait_storecnt 0x0
	s_barrier_signal -1
	s_barrier_wait -1
	s_cbranch_vccnz .LBB1_17
; %bb.9:
	v_dual_mov_b32 v4, 0 :: v_dual_mov_b32 v1, 0
	s_add_nc_u64 s[6:7], s[6:7], s[16:17]
	s_add_nc_u64 s[16:17], s[0:1], 48
	s_mov_b32 s20, 0
	s_branch .LBB1_12
.LBB1_10:                               ;   in Loop: Header=BB1_12 Depth=1
	s_or_b32 exec_lo, exec_lo, s18
.LBB1_11:                               ;   in Loop: Header=BB1_12 Depth=1
	s_delay_alu instid0(SALU_CYCLE_1) | instskip(SKIP_1) | instid1(SALU_CYCLE_1)
	s_or_b32 exec_lo, exec_lo, s22
	s_add_co_i32 s20, s20, 1
	s_cmp_eq_u32 s20, s13
	s_cselect_b32 s18, -1, 0
	s_delay_alu instid0(SALU_CYCLE_1) | instskip(NEXT) | instid1(SALU_CYCLE_1)
	s_or_b32 s18, s21, s18
	s_and_not1_b32 vcc_lo, exec_lo, s18
	s_cbranch_vccz .LBB1_18
.LBB1_12:                               ; =>This Loop Header: Depth=1
                                        ;     Child Loop BB1_15 Depth 2
	s_load_b64 s[18:19], s[8:9], s20 offset:0x0 scale_offset
	s_wait_kmcnt 0x0
	s_bitcmp1_b32 s18, 31
	s_cselect_b32 s21, -1, 0
	s_delay_alu instid0(SALU_CYCLE_1) | instskip(NEXT) | instid1(SALU_CYCLE_1)
	s_nor_b32 s23, s21, s3
	s_and_saveexec_b32 s22, s23
	s_cbranch_execz .LBB1_11
; %bb.13:                               ;   in Loop: Header=BB1_12 Depth=1
	s_and_b64 s[18:19], s[18:19], 0x7fffffff
	s_delay_alu instid0(SALU_CYCLE_1) | instskip(NEXT) | instid1(SALU_CYCLE_1)
	s_lshl_b64 s[18:19], s[18:19], 2
	s_add_nc_u64 s[18:19], s[6:7], s[18:19]
	global_load_b32 v2, v4, s[18:19]
	s_wait_xcnt 0x0
	s_load_b32 s18, s[16:17], 0xc
	s_wait_kmcnt 0x0
	s_and_b32 s19, s18, 0xffff
	s_mov_b32 s18, 0
	s_wait_loadcnt 0x0
	v_dual_sub_f32 v5, 1.0, v2 :: v_dual_mov_b32 v2, v0
	s_branch .LBB1_15
.LBB1_14:                               ;   in Loop: Header=BB1_15 Depth=2
	s_or_b32 exec_lo, exec_lo, s23
	v_add_nc_u32_e32 v2, s19, v2
	s_delay_alu instid0(VALU_DEP_1) | instskip(SKIP_1) | instid1(SALU_CYCLE_1)
	v_cmp_le_i32_e32 vcc_lo, s13, v2
	s_or_b32 s18, vcc_lo, s18
	s_and_not1_b32 exec_lo, exec_lo, s18
	s_cbranch_execz .LBB1_10
.LBB1_15:                               ;   Parent Loop BB1_12 Depth=1
                                        ; =>  This Inner Loop Header: Depth=2
	global_load_b32 v3, v2, s[10:11] scale_offset
	s_mov_b32 s23, exec_lo
	s_wait_loadcnt 0x0
	v_cvt_i32_f32_e32 v6, v3
	v_ashrrev_i32_e32 v3, 31, v2
	s_delay_alu instid0(VALU_DEP_2)
	v_cmpx_eq_u32_e32 0, v6
	s_cbranch_execz .LBB1_14
; %bb.16:                               ;   in Loop: Header=BB1_15 Depth=2
	s_delay_alu instid0(VALU_DEP_2) | instskip(SKIP_3) | instid1(VALU_DEP_1)
	v_lshl_add_u64 v[6:7], v[2:3], 2, s[6:7]
	global_load_b32 v3, v[6:7], off
	s_wait_loadcnt 0x0
	v_add_f32_e32 v3, v5, v3
	v_add_f32_e32 v6, v1, v3
	v_cmp_lt_f32_e32 vcc_lo, 0, v3
	s_delay_alu instid0(VALU_DEP_2)
	v_cndmask_b32_e32 v1, v1, v6, vcc_lo
	s_branch .LBB1_14
.LBB1_17:
	v_mov_b32_e32 v1, 0
.LBB1_18:
	v_mbcnt_lo_u32_b32 v5, -1, 0
	s_mov_b32 s3, exec_lo
	s_barrier_signal -1
	s_barrier_wait -1
	s_delay_alu instid0(VALU_DEP_1) | instskip(SKIP_4) | instid1(VALU_DEP_2)
	v_lshl_or_b32 v2, v5, 2, 64
	v_cmp_gt_u32_e32 vcc_lo, 24, v5
	ds_bpermute_b32 v4, v2, v1
	v_cndmask_b32_e64 v3, 0, 8, vcc_lo
	v_cmp_gt_u32_e32 vcc_lo, 28, v5
	v_add_lshl_u32 v3, v3, v5, 2
	s_wait_dscnt 0x0
	v_add_f32_e32 v4, v1, v4
	v_cndmask_b32_e64 v1, 0, 4, vcc_lo
	v_cmp_gt_u32_e32 vcc_lo, 30, v5
	ds_bpermute_b32 v6, v3, v4
	v_add_lshl_u32 v1, v1, v5, 2
	s_wait_dscnt 0x0
	v_add_f32_e32 v6, v4, v6
	v_cndmask_b32_e64 v4, 0, 2, vcc_lo
	v_cmp_ne_u32_e32 vcc_lo, 31, v5
	s_delay_alu instid0(VALU_DEP_2) | instskip(SKIP_1) | instid1(VALU_DEP_1)
	v_add_lshl_u32 v4, v4, v5, 2
	v_add_co_ci_u32_e64 v5, null, 0, v5, vcc_lo
	v_lshlrev_b32_e32 v5, 2, v5
	ds_bpermute_b32 v7, v1, v6
	s_wait_dscnt 0x0
	v_add_f32_e32 v6, v6, v7
	ds_bpermute_b32 v7, v4, v6
	s_wait_dscnt 0x0
	v_dual_add_f32 v6, v6, v7 :: v_dual_bitop2_b32 v7, 31, v0 bitop3:0x40
	ds_bpermute_b32 v8, v5, v6
	v_cmpx_eq_u32_e32 0, v7
	s_cbranch_execz .LBB1_20
; %bb.19:
	s_wait_dscnt 0x0
	v_add_f32_e32 v6, v6, v8
	v_lshrrev_b32_e32 v8, 3, v0
	ds_store_b32 v8, v6
.LBB1_20:
	s_or_b32 exec_lo, exec_lo, s3
	s_wait_dscnt 0x0
	s_barrier_signal -1
	s_barrier_wait -1
	s_load_b32 s0, s[0:1], 0x3c
	v_mov_b32_e32 v6, 0
	s_wait_kmcnt 0x0
	s_bfe_u32 s0, s0, 0xb0005
	s_delay_alu instid0(SALU_CYCLE_1)
	v_cmp_gt_u32_e32 vcc_lo, s0, v0
	s_and_saveexec_b32 s0, vcc_lo
; %bb.21:
	v_lshlrev_b32_e32 v6, 2, v7
	ds_load_b32 v6, v6
; %bb.22:
	s_or_b32 exec_lo, exec_lo, s0
	s_delay_alu instid0(SALU_CYCLE_1)
	s_mov_b32 s0, exec_lo
	v_cmpx_gt_u32_e32 32, v0
	s_cbranch_execnz .LBB1_25
; %bb.23:
	s_or_b32 exec_lo, exec_lo, s0
	s_and_saveexec_b32 s0, s2
	s_cbranch_execnz .LBB1_26
.LBB1_24:
	s_endpgm
.LBB1_25:
	s_wait_dscnt 0x0
	ds_bpermute_b32 v0, v2, v6
	s_wait_dscnt 0x0
	v_add_f32_e32 v0, v6, v0
	ds_bpermute_b32 v2, v3, v0
	s_wait_dscnt 0x0
	v_add_f32_e32 v0, v0, v2
	;; [unrolled: 3-line block ×5, first 2 shown]
	s_or_b32 exec_lo, exec_lo, s0
	s_and_saveexec_b32 s0, s2
	s_cbranch_execz .LBB1_24
.LBB1_26:
	s_cvt_f32_i32 s0, s13
	s_bitcmp0_b32 s14, 0
	s_wait_dscnt 0x0
	s_delay_alu instid0(SALU_CYCLE_1) | instskip(NEXT) | instid1(VALU_DEP_1)
	v_div_scale_f32 v0, null, s0, s0, v6
	v_rcp_f32_e32 v1, v0
	v_nop
	s_delay_alu instid0(TRANS32_DEP_1) | instskip(NEXT) | instid1(VALU_DEP_1)
	v_fma_f32 v2, -v0, v1, 1.0
	v_fmac_f32_e32 v1, v2, v1
	v_div_scale_f32 v2, vcc_lo, v6, s0, v6
	s_delay_alu instid0(VALU_DEP_1) | instskip(NEXT) | instid1(VALU_DEP_1)
	v_mul_f32_e32 v3, v2, v1
	v_fma_f32 v4, -v0, v3, v2
	s_delay_alu instid0(VALU_DEP_1) | instskip(NEXT) | instid1(VALU_DEP_1)
	v_fmac_f32_e32 v3, v4, v1
	v_fma_f32 v0, -v0, v3, v2
	s_delay_alu instid0(VALU_DEP_1) | instskip(NEXT) | instid1(VALU_DEP_1)
	v_div_fmas_f32 v0, v0, v1, v3
	v_div_fixup_f32 v0, v0, s0, v6
	s_cbranch_scc1 .LBB1_28
; %bb.27:
	s_cvt_f32_i32 s0, s12
	s_delay_alu instid0(VALU_DEP_1) | instid1(SALU_CYCLE_3)
	v_div_scale_f32 v1, null, s0, s0, v0
	s_delay_alu instid0(VALU_DEP_1) | instskip(SKIP_1) | instid1(TRANS32_DEP_1)
	v_rcp_f32_e32 v2, v1
	v_nop
	v_fma_f32 v3, -v1, v2, 1.0
	s_delay_alu instid0(VALU_DEP_1) | instskip(SKIP_1) | instid1(VALU_DEP_1)
	v_fmac_f32_e32 v2, v3, v2
	v_div_scale_f32 v3, vcc_lo, v0, s0, v0
	v_mul_f32_e32 v4, v3, v2
	s_delay_alu instid0(VALU_DEP_1) | instskip(NEXT) | instid1(VALU_DEP_1)
	v_fma_f32 v5, -v1, v4, v3
	v_fmac_f32_e32 v4, v5, v2
	s_delay_alu instid0(VALU_DEP_1) | instskip(NEXT) | instid1(VALU_DEP_1)
	v_fma_f32 v1, -v1, v4, v3
	v_div_fmas_f32 v1, v1, v2, v4
	s_delay_alu instid0(VALU_DEP_1)
	v_div_fixup_f32 v0, v1, s0, v0
.LBB1_28:
	v_mov_b32_e32 v1, s15
	global_store_b32 v1, v0, s[4:5] scale_offset
	s_endpgm
	.section	.rodata,"a",@progbits
	.p2align	6, 0x0
	.amdhsa_kernel _ZN2at6native12_GLOBAL__N_137multilabel_margin_loss_forward_kernelIffEEvPT_PKS3_PKlS4_iib
		.amdhsa_group_segment_fixed_size 512
		.amdhsa_private_segment_fixed_size 0
		.amdhsa_kernarg_size 304
		.amdhsa_user_sgpr_count 2
		.amdhsa_user_sgpr_dispatch_ptr 0
		.amdhsa_user_sgpr_queue_ptr 0
		.amdhsa_user_sgpr_kernarg_segment_ptr 1
		.amdhsa_user_sgpr_dispatch_id 0
		.amdhsa_user_sgpr_kernarg_preload_length 0
		.amdhsa_user_sgpr_kernarg_preload_offset 0
		.amdhsa_user_sgpr_private_segment_size 0
		.amdhsa_wavefront_size32 1
		.amdhsa_uses_dynamic_stack 0
		.amdhsa_enable_private_segment 0
		.amdhsa_system_sgpr_workgroup_id_x 1
		.amdhsa_system_sgpr_workgroup_id_y 0
		.amdhsa_system_sgpr_workgroup_id_z 0
		.amdhsa_system_sgpr_workgroup_info 0
		.amdhsa_system_vgpr_workitem_id 0
		.amdhsa_next_free_vgpr 9
		.amdhsa_next_free_sgpr 26
		.amdhsa_named_barrier_count 0
		.amdhsa_reserve_vcc 1
		.amdhsa_float_round_mode_32 0
		.amdhsa_float_round_mode_16_64 0
		.amdhsa_float_denorm_mode_32 3
		.amdhsa_float_denorm_mode_16_64 3
		.amdhsa_fp16_overflow 0
		.amdhsa_memory_ordered 1
		.amdhsa_forward_progress 1
		.amdhsa_inst_pref_size 11
		.amdhsa_round_robin_scheduling 0
		.amdhsa_exception_fp_ieee_invalid_op 0
		.amdhsa_exception_fp_denorm_src 0
		.amdhsa_exception_fp_ieee_div_zero 0
		.amdhsa_exception_fp_ieee_overflow 0
		.amdhsa_exception_fp_ieee_underflow 0
		.amdhsa_exception_fp_ieee_inexact 0
		.amdhsa_exception_int_div_zero 0
	.end_amdhsa_kernel
	.section	.text._ZN2at6native12_GLOBAL__N_137multilabel_margin_loss_forward_kernelIffEEvPT_PKS3_PKlS4_iib,"axG",@progbits,_ZN2at6native12_GLOBAL__N_137multilabel_margin_loss_forward_kernelIffEEvPT_PKS3_PKlS4_iib,comdat
.Lfunc_end1:
	.size	_ZN2at6native12_GLOBAL__N_137multilabel_margin_loss_forward_kernelIffEEvPT_PKS3_PKlS4_iib, .Lfunc_end1-_ZN2at6native12_GLOBAL__N_137multilabel_margin_loss_forward_kernelIffEEvPT_PKS3_PKlS4_iib
                                        ; -- End function
	.set _ZN2at6native12_GLOBAL__N_137multilabel_margin_loss_forward_kernelIffEEvPT_PKS3_PKlS4_iib.num_vgpr, 9
	.set _ZN2at6native12_GLOBAL__N_137multilabel_margin_loss_forward_kernelIffEEvPT_PKS3_PKlS4_iib.num_agpr, 0
	.set _ZN2at6native12_GLOBAL__N_137multilabel_margin_loss_forward_kernelIffEEvPT_PKS3_PKlS4_iib.numbered_sgpr, 26
	.set _ZN2at6native12_GLOBAL__N_137multilabel_margin_loss_forward_kernelIffEEvPT_PKS3_PKlS4_iib.num_named_barrier, 0
	.set _ZN2at6native12_GLOBAL__N_137multilabel_margin_loss_forward_kernelIffEEvPT_PKS3_PKlS4_iib.private_seg_size, 0
	.set _ZN2at6native12_GLOBAL__N_137multilabel_margin_loss_forward_kernelIffEEvPT_PKS3_PKlS4_iib.uses_vcc, 1
	.set _ZN2at6native12_GLOBAL__N_137multilabel_margin_loss_forward_kernelIffEEvPT_PKS3_PKlS4_iib.uses_flat_scratch, 0
	.set _ZN2at6native12_GLOBAL__N_137multilabel_margin_loss_forward_kernelIffEEvPT_PKS3_PKlS4_iib.has_dyn_sized_stack, 0
	.set _ZN2at6native12_GLOBAL__N_137multilabel_margin_loss_forward_kernelIffEEvPT_PKS3_PKlS4_iib.has_recursion, 0
	.set _ZN2at6native12_GLOBAL__N_137multilabel_margin_loss_forward_kernelIffEEvPT_PKS3_PKlS4_iib.has_indirect_call, 0
	.section	.AMDGPU.csdata,"",@progbits
; Kernel info:
; codeLenInByte = 1320
; TotalNumSgprs: 28
; NumVgprs: 9
; ScratchSize: 0
; MemoryBound: 0
; FloatMode: 240
; IeeeMode: 1
; LDSByteSize: 512 bytes/workgroup (compile time only)
; SGPRBlocks: 0
; VGPRBlocks: 0
; NumSGPRsForWavesPerEU: 28
; NumVGPRsForWavesPerEU: 9
; NamedBarCnt: 0
; Occupancy: 16
; WaveLimiterHint : 1
; COMPUTE_PGM_RSRC2:SCRATCH_EN: 0
; COMPUTE_PGM_RSRC2:USER_SGPR: 2
; COMPUTE_PGM_RSRC2:TRAP_HANDLER: 0
; COMPUTE_PGM_RSRC2:TGID_X_EN: 1
; COMPUTE_PGM_RSRC2:TGID_Y_EN: 0
; COMPUTE_PGM_RSRC2:TGID_Z_EN: 0
; COMPUTE_PGM_RSRC2:TIDIG_COMP_CNT: 0
	.section	.text._ZN2at6native12_GLOBAL__N_137multilabel_margin_loss_forward_kernelIN3c104HalfEfEEvPT_PKS5_PKlS6_iib,"axG",@progbits,_ZN2at6native12_GLOBAL__N_137multilabel_margin_loss_forward_kernelIN3c104HalfEfEEvPT_PKS5_PKlS6_iib,comdat
	.globl	_ZN2at6native12_GLOBAL__N_137multilabel_margin_loss_forward_kernelIN3c104HalfEfEEvPT_PKS5_PKlS6_iib ; -- Begin function _ZN2at6native12_GLOBAL__N_137multilabel_margin_loss_forward_kernelIN3c104HalfEfEEvPT_PKS5_PKlS6_iib
	.p2align	8
	.type	_ZN2at6native12_GLOBAL__N_137multilabel_margin_loss_forward_kernelIN3c104HalfEfEEvPT_PKS5_PKlS6_iib,@function
_ZN2at6native12_GLOBAL__N_137multilabel_margin_loss_forward_kernelIN3c104HalfEfEEvPT_PKS5_PKlS6_iib: ; @_ZN2at6native12_GLOBAL__N_137multilabel_margin_loss_forward_kernelIN3c104HalfEfEEvPT_PKS5_PKlS6_iib
; %bb.0:
	s_clause 0x1
	s_load_b96 s[12:14], s[0:1], 0x20
	s_load_b256 s[4:11], s[0:1], 0x0
	s_bfe_u32 s2, ttmp6, 0x4000c
	s_and_b32 s3, ttmp6, 15
	s_add_co_i32 s2, s2, 1
	s_getreg_b32 s15, hwreg(HW_REG_IB_STS2, 6, 4)
	s_mul_i32 s2, ttmp9, s2
	s_delay_alu instid0(SALU_CYCLE_1)
	s_add_co_i32 s3, s3, s2
	s_cmp_eq_u32 s15, 0
	s_mov_b32 s2, 0
	s_cselect_b32 s15, ttmp9, s3
	s_wait_kmcnt 0x0
	s_mul_i32 s18, s13, s15
	v_cmp_gt_i32_e64 s3, s13, v0
	s_ashr_i32 s19, s18, 31
	s_delay_alu instid0(SALU_CYCLE_1) | instskip(NEXT) | instid1(SALU_CYCLE_1)
	s_lshl_b64 s[16:17], s[18:19], 1
	s_add_nc_u64 s[10:11], s[10:11], s[16:17]
	s_and_saveexec_b32 s20, s3
	s_cbranch_execz .LBB2_3
; %bb.1:
	s_load_b32 s21, s[0:1], 0x3c
	v_dual_mov_b32 v1, 0 :: v_dual_mov_b32 v2, v0
	s_wait_kmcnt 0x0
	s_and_b32 s21, s21, 0xffff
.LBB2_2:                                ; =>This Inner Loop Header: Depth=1
	global_store_b16 v2, v1, s[10:11] scale_offset
	s_wait_xcnt 0x0
	v_add_nc_u32_e32 v2, s21, v2
	s_delay_alu instid0(VALU_DEP_1) | instskip(SKIP_1) | instid1(SALU_CYCLE_1)
	v_cmp_le_i32_e32 vcc_lo, s13, v2
	s_or_b32 s2, vcc_lo, s2
	s_and_not1_b32 exec_lo, exec_lo, s2
	s_cbranch_execnz .LBB2_2
.LBB2_3:
	s_or_b32 exec_lo, exec_lo, s20
	s_lshl_b64 s[18:19], s[18:19], 3
	v_cmp_eq_u32_e64 s2, 0, v0
	s_cmp_gt_i32 s13, 0
	s_add_nc_u64 s[8:9], s[8:9], s[18:19]
	s_cselect_b32 s22, -1, 0
	s_wait_storecnt 0x0
	s_and_b32 s18, s2, s22
	s_barrier_signal -1
	s_barrier_wait -1
	s_and_saveexec_b32 s23, s18
	s_cbranch_execz .LBB2_8
; %bb.4:
	v_mov_b32_e32 v1, 0x3c00
	s_mov_b64 s[18:19], s[8:9]
	s_mov_b32 s24, s13
	s_branch .LBB2_6
.LBB2_5:                                ;   in Loop: Header=BB2_6 Depth=1
	s_and_not1_b32 vcc_lo, exec_lo, s21
	s_cbranch_vccz .LBB2_8
.LBB2_6:                                ; =>This Inner Loop Header: Depth=1
	s_load_b64 s[20:21], s[18:19], 0x0
	s_wait_kmcnt 0x0
	s_bitcmp1_b64 s[20:21], 31
	s_mov_b32 s21, -1
	s_cbranch_scc1 .LBB2_5
; %bb.7:                                ;   in Loop: Header=BB2_6 Depth=1
	s_add_co_i32 s24, s24, -1
	v_mov_b32_e32 v2, s20
	s_cmp_eq_u32 s24, 0
	s_wait_xcnt 0x0
	s_add_nc_u64 s[18:19], s[18:19], 8
	s_cselect_b32 s21, -1, 0
	global_store_b16 v2, v1, s[10:11] scale_offset
	s_branch .LBB2_5
.LBB2_8:
	s_wait_xcnt 0x0
	s_or_b32 exec_lo, exec_lo, s23
	v_mov_b32_e32 v1, 0
	s_and_not1_b32 vcc_lo, exec_lo, s22
	s_wait_storecnt 0x0
	s_barrier_signal -1
	s_barrier_wait -1
	s_cbranch_vccnz .LBB2_19
; %bb.9:
	s_add_nc_u64 s[6:7], s[6:7], s[16:17]
	s_add_nc_u64 s[16:17], s[0:1], 48
	s_mov_b32 s20, 0
	s_branch .LBB2_11
.LBB2_10:                               ;   in Loop: Header=BB2_11 Depth=1
                                        ; implicit-def: $sgpr20
	s_and_b32 vcc_lo, exec_lo, s19
	s_cbranch_vccnz .LBB2_19
.LBB2_11:                               ; =>This Loop Header: Depth=1
                                        ;     Child Loop BB2_15 Depth 2
	s_load_b64 s[18:19], s[8:9], s20 offset:0x0 scale_offset
	s_wait_kmcnt 0x0
	s_bitcmp1_b64 s[18:19], 31
	s_mov_b32 s19, -1
	s_cbranch_scc1 .LBB2_10
; %bb.12:                               ;   in Loop: Header=BB2_11 Depth=1
	s_and_saveexec_b32 s19, s3
	s_cbranch_execz .LBB2_18
; %bb.13:                               ;   in Loop: Header=BB2_11 Depth=1
	v_mov_b32_e32 v2, s18
	s_load_b32 s18, s[16:17], 0xc
	global_load_u16 v2, v2, s[6:7] scale_offset
	s_wait_kmcnt 0x0
	s_and_b32 s21, s18, 0xffff
	s_mov_b32 s18, 0
	s_wait_loadcnt 0x0
	v_sub_f16_e32 v4, 1.0, v2
	v_mov_b32_e32 v2, v0
	s_branch .LBB2_15
.LBB2_14:                               ;   in Loop: Header=BB2_15 Depth=2
	s_or_b32 exec_lo, exec_lo, s22
	v_add_nc_u32_e32 v2, s21, v2
	s_delay_alu instid0(VALU_DEP_1) | instskip(SKIP_1) | instid1(SALU_CYCLE_1)
	v_cmp_le_i32_e32 vcc_lo, s13, v2
	s_or_b32 s18, vcc_lo, s18
	s_and_not1_b32 exec_lo, exec_lo, s18
	s_cbranch_execz .LBB2_17
.LBB2_15:                               ;   Parent Loop BB2_11 Depth=1
                                        ; =>  This Inner Loop Header: Depth=2
	global_load_u16 v3, v2, s[10:11] scale_offset
	s_mov_b32 s22, exec_lo
	s_wait_loadcnt 0x0
	v_cvt_f32_f16_e32 v3, v3
	s_delay_alu instid0(VALU_DEP_1) | instskip(SKIP_1) | instid1(VALU_DEP_2)
	v_cvt_i32_f32_e32 v5, v3
	v_ashrrev_i32_e32 v3, 31, v2
	v_cmpx_eq_u32_e32 0, v5
	s_cbranch_execz .LBB2_14
; %bb.16:                               ;   in Loop: Header=BB2_15 Depth=2
	s_delay_alu instid0(VALU_DEP_2) | instskip(SKIP_3) | instid1(VALU_DEP_1)
	v_lshl_add_u64 v[6:7], v[2:3], 1, s[6:7]
	global_load_u16 v3, v[6:7], off
	s_wait_loadcnt 0x0
	v_add_f16_e32 v3, v4, v3
	v_cvt_f32_f16_e32 v5, v3
	v_cmp_lt_f16_e32 vcc_lo, 0, v3
	s_delay_alu instid0(VALU_DEP_2) | instskip(NEXT) | instid1(VALU_DEP_1)
	v_add_f32_e32 v5, v1, v5
	v_cndmask_b32_e32 v1, v1, v5, vcc_lo
	s_branch .LBB2_14
.LBB2_17:                               ;   in Loop: Header=BB2_11 Depth=1
	s_or_b32 exec_lo, exec_lo, s18
.LBB2_18:                               ;   in Loop: Header=BB2_11 Depth=1
	s_delay_alu instid0(SALU_CYCLE_1) | instskip(SKIP_1) | instid1(SALU_CYCLE_1)
	s_or_b32 exec_lo, exec_lo, s19
	s_add_co_i32 s20, s20, 1
	s_cmp_eq_u32 s20, s13
	s_cselect_b32 s19, -1, 0
	s_delay_alu instid0(SALU_CYCLE_1)
	s_and_b32 vcc_lo, exec_lo, s19
	s_cbranch_vccz .LBB2_11
.LBB2_19:
	v_mbcnt_lo_u32_b32 v5, -1, 0
	s_mov_b32 s3, exec_lo
	s_barrier_signal -1
	s_barrier_wait -1
	s_delay_alu instid0(VALU_DEP_1) | instskip(SKIP_4) | instid1(VALU_DEP_2)
	v_lshl_or_b32 v2, v5, 2, 64
	v_cmp_gt_u32_e32 vcc_lo, 24, v5
	ds_bpermute_b32 v4, v2, v1
	v_cndmask_b32_e64 v3, 0, 8, vcc_lo
	v_cmp_gt_u32_e32 vcc_lo, 28, v5
	v_add_lshl_u32 v3, v3, v5, 2
	s_wait_dscnt 0x0
	v_add_f32_e32 v4, v1, v4
	v_cndmask_b32_e64 v1, 0, 4, vcc_lo
	v_cmp_gt_u32_e32 vcc_lo, 30, v5
	ds_bpermute_b32 v6, v3, v4
	v_add_lshl_u32 v1, v1, v5, 2
	s_wait_dscnt 0x0
	v_add_f32_e32 v6, v4, v6
	v_cndmask_b32_e64 v4, 0, 2, vcc_lo
	v_cmp_ne_u32_e32 vcc_lo, 31, v5
	s_delay_alu instid0(VALU_DEP_2) | instskip(SKIP_1) | instid1(VALU_DEP_1)
	v_add_lshl_u32 v4, v4, v5, 2
	v_add_co_ci_u32_e64 v5, null, 0, v5, vcc_lo
	v_lshlrev_b32_e32 v5, 2, v5
	ds_bpermute_b32 v7, v1, v6
	s_wait_dscnt 0x0
	v_add_f32_e32 v6, v6, v7
	ds_bpermute_b32 v7, v4, v6
	s_wait_dscnt 0x0
	v_dual_add_f32 v6, v6, v7 :: v_dual_bitop2_b32 v7, 31, v0 bitop3:0x40
	ds_bpermute_b32 v8, v5, v6
	v_cmpx_eq_u32_e32 0, v7
	s_cbranch_execz .LBB2_21
; %bb.20:
	s_wait_dscnt 0x0
	v_add_f32_e32 v6, v6, v8
	v_lshrrev_b32_e32 v8, 3, v0
	ds_store_b32 v8, v6
.LBB2_21:
	s_or_b32 exec_lo, exec_lo, s3
	s_wait_dscnt 0x0
	s_barrier_signal -1
	s_barrier_wait -1
	s_load_b32 s0, s[0:1], 0x3c
	v_mov_b32_e32 v6, 0
	s_wait_kmcnt 0x0
	s_bfe_u32 s0, s0, 0xb0005
	s_delay_alu instid0(SALU_CYCLE_1)
	v_cmp_gt_u32_e32 vcc_lo, s0, v0
	s_and_saveexec_b32 s0, vcc_lo
; %bb.22:
	v_lshlrev_b32_e32 v6, 2, v7
	ds_load_b32 v6, v6
; %bb.23:
	s_or_b32 exec_lo, exec_lo, s0
	s_delay_alu instid0(SALU_CYCLE_1)
	s_mov_b32 s0, exec_lo
	v_cmpx_gt_u32_e32 32, v0
	s_cbranch_execnz .LBB2_26
; %bb.24:
	s_or_b32 exec_lo, exec_lo, s0
	s_and_saveexec_b32 s0, s2
	s_cbranch_execnz .LBB2_27
.LBB2_25:
	s_endpgm
.LBB2_26:
	s_wait_dscnt 0x0
	ds_bpermute_b32 v0, v2, v6
	s_wait_dscnt 0x0
	v_add_f32_e32 v0, v6, v0
	ds_bpermute_b32 v2, v3, v0
	s_wait_dscnt 0x0
	v_add_f32_e32 v0, v0, v2
	;; [unrolled: 3-line block ×5, first 2 shown]
	s_or_b32 exec_lo, exec_lo, s0
	s_and_saveexec_b32 s0, s2
	s_cbranch_execz .LBB2_25
.LBB2_27:
	s_cvt_f32_i32 s0, s13
	s_bitcmp0_b32 s14, 0
	s_wait_dscnt 0x0
	s_delay_alu instid0(SALU_CYCLE_1) | instskip(NEXT) | instid1(VALU_DEP_1)
	v_div_scale_f32 v0, null, s0, s0, v6
	v_rcp_f32_e32 v1, v0
	v_nop
	s_delay_alu instid0(TRANS32_DEP_1) | instskip(NEXT) | instid1(VALU_DEP_1)
	v_fma_f32 v2, -v0, v1, 1.0
	v_fmac_f32_e32 v1, v2, v1
	v_div_scale_f32 v2, vcc_lo, v6, s0, v6
	s_delay_alu instid0(VALU_DEP_1) | instskip(NEXT) | instid1(VALU_DEP_1)
	v_mul_f32_e32 v3, v2, v1
	v_fma_f32 v4, -v0, v3, v2
	s_delay_alu instid0(VALU_DEP_1) | instskip(NEXT) | instid1(VALU_DEP_1)
	v_fmac_f32_e32 v3, v4, v1
	v_fma_f32 v0, -v0, v3, v2
	s_delay_alu instid0(VALU_DEP_1) | instskip(NEXT) | instid1(VALU_DEP_1)
	v_div_fmas_f32 v0, v0, v1, v3
	v_div_fixup_f32 v0, v0, s0, v6
	s_cbranch_scc1 .LBB2_29
; %bb.28:
	s_cvt_f32_i32 s0, s12
	s_delay_alu instid0(VALU_DEP_1) | instid1(SALU_CYCLE_3)
	v_div_scale_f32 v1, null, s0, s0, v0
	s_delay_alu instid0(VALU_DEP_1) | instskip(SKIP_1) | instid1(TRANS32_DEP_1)
	v_rcp_f32_e32 v2, v1
	v_nop
	v_fma_f32 v3, -v1, v2, 1.0
	s_delay_alu instid0(VALU_DEP_1) | instskip(SKIP_1) | instid1(VALU_DEP_1)
	v_fmac_f32_e32 v2, v3, v2
	v_div_scale_f32 v3, vcc_lo, v0, s0, v0
	v_mul_f32_e32 v4, v3, v2
	s_delay_alu instid0(VALU_DEP_1) | instskip(NEXT) | instid1(VALU_DEP_1)
	v_fma_f32 v5, -v1, v4, v3
	v_fmac_f32_e32 v4, v5, v2
	s_delay_alu instid0(VALU_DEP_1) | instskip(NEXT) | instid1(VALU_DEP_1)
	v_fma_f32 v1, -v1, v4, v3
	v_div_fmas_f32 v1, v1, v2, v4
	s_delay_alu instid0(VALU_DEP_1)
	v_div_fixup_f32 v0, v1, s0, v0
.LBB2_29:
	s_delay_alu instid0(VALU_DEP_1)
	v_cvt_f16_f32_e32 v0, v0
	v_mov_b32_e32 v1, s15
	global_store_b16 v1, v0, s[4:5] scale_offset
	s_endpgm
	.section	.rodata,"a",@progbits
	.p2align	6, 0x0
	.amdhsa_kernel _ZN2at6native12_GLOBAL__N_137multilabel_margin_loss_forward_kernelIN3c104HalfEfEEvPT_PKS5_PKlS6_iib
		.amdhsa_group_segment_fixed_size 512
		.amdhsa_private_segment_fixed_size 0
		.amdhsa_kernarg_size 304
		.amdhsa_user_sgpr_count 2
		.amdhsa_user_sgpr_dispatch_ptr 0
		.amdhsa_user_sgpr_queue_ptr 0
		.amdhsa_user_sgpr_kernarg_segment_ptr 1
		.amdhsa_user_sgpr_dispatch_id 0
		.amdhsa_user_sgpr_kernarg_preload_length 0
		.amdhsa_user_sgpr_kernarg_preload_offset 0
		.amdhsa_user_sgpr_private_segment_size 0
		.amdhsa_wavefront_size32 1
		.amdhsa_uses_dynamic_stack 0
		.amdhsa_enable_private_segment 0
		.amdhsa_system_sgpr_workgroup_id_x 1
		.amdhsa_system_sgpr_workgroup_id_y 0
		.amdhsa_system_sgpr_workgroup_id_z 0
		.amdhsa_system_sgpr_workgroup_info 0
		.amdhsa_system_vgpr_workitem_id 0
		.amdhsa_next_free_vgpr 9
		.amdhsa_next_free_sgpr 25
		.amdhsa_named_barrier_count 0
		.amdhsa_reserve_vcc 1
		.amdhsa_float_round_mode_32 0
		.amdhsa_float_round_mode_16_64 0
		.amdhsa_float_denorm_mode_32 3
		.amdhsa_float_denorm_mode_16_64 3
		.amdhsa_fp16_overflow 0
		.amdhsa_memory_ordered 1
		.amdhsa_forward_progress 1
		.amdhsa_inst_pref_size 11
		.amdhsa_round_robin_scheduling 0
		.amdhsa_exception_fp_ieee_invalid_op 0
		.amdhsa_exception_fp_denorm_src 0
		.amdhsa_exception_fp_ieee_div_zero 0
		.amdhsa_exception_fp_ieee_overflow 0
		.amdhsa_exception_fp_ieee_underflow 0
		.amdhsa_exception_fp_ieee_inexact 0
		.amdhsa_exception_int_div_zero 0
	.end_amdhsa_kernel
	.section	.text._ZN2at6native12_GLOBAL__N_137multilabel_margin_loss_forward_kernelIN3c104HalfEfEEvPT_PKS5_PKlS6_iib,"axG",@progbits,_ZN2at6native12_GLOBAL__N_137multilabel_margin_loss_forward_kernelIN3c104HalfEfEEvPT_PKS5_PKlS6_iib,comdat
.Lfunc_end2:
	.size	_ZN2at6native12_GLOBAL__N_137multilabel_margin_loss_forward_kernelIN3c104HalfEfEEvPT_PKS5_PKlS6_iib, .Lfunc_end2-_ZN2at6native12_GLOBAL__N_137multilabel_margin_loss_forward_kernelIN3c104HalfEfEEvPT_PKS5_PKlS6_iib
                                        ; -- End function
	.set _ZN2at6native12_GLOBAL__N_137multilabel_margin_loss_forward_kernelIN3c104HalfEfEEvPT_PKS5_PKlS6_iib.num_vgpr, 9
	.set _ZN2at6native12_GLOBAL__N_137multilabel_margin_loss_forward_kernelIN3c104HalfEfEEvPT_PKS5_PKlS6_iib.num_agpr, 0
	.set _ZN2at6native12_GLOBAL__N_137multilabel_margin_loss_forward_kernelIN3c104HalfEfEEvPT_PKS5_PKlS6_iib.numbered_sgpr, 25
	.set _ZN2at6native12_GLOBAL__N_137multilabel_margin_loss_forward_kernelIN3c104HalfEfEEvPT_PKS5_PKlS6_iib.num_named_barrier, 0
	.set _ZN2at6native12_GLOBAL__N_137multilabel_margin_loss_forward_kernelIN3c104HalfEfEEvPT_PKS5_PKlS6_iib.private_seg_size, 0
	.set _ZN2at6native12_GLOBAL__N_137multilabel_margin_loss_forward_kernelIN3c104HalfEfEEvPT_PKS5_PKlS6_iib.uses_vcc, 1
	.set _ZN2at6native12_GLOBAL__N_137multilabel_margin_loss_forward_kernelIN3c104HalfEfEEvPT_PKS5_PKlS6_iib.uses_flat_scratch, 0
	.set _ZN2at6native12_GLOBAL__N_137multilabel_margin_loss_forward_kernelIN3c104HalfEfEEvPT_PKS5_PKlS6_iib.has_dyn_sized_stack, 0
	.set _ZN2at6native12_GLOBAL__N_137multilabel_margin_loss_forward_kernelIN3c104HalfEfEEvPT_PKS5_PKlS6_iib.has_recursion, 0
	.set _ZN2at6native12_GLOBAL__N_137multilabel_margin_loss_forward_kernelIN3c104HalfEfEEvPT_PKS5_PKlS6_iib.has_indirect_call, 0
	.section	.AMDGPU.csdata,"",@progbits
; Kernel info:
; codeLenInByte = 1284
; TotalNumSgprs: 27
; NumVgprs: 9
; ScratchSize: 0
; MemoryBound: 0
; FloatMode: 240
; IeeeMode: 1
; LDSByteSize: 512 bytes/workgroup (compile time only)
; SGPRBlocks: 0
; VGPRBlocks: 0
; NumSGPRsForWavesPerEU: 27
; NumVGPRsForWavesPerEU: 9
; NamedBarCnt: 0
; Occupancy: 16
; WaveLimiterHint : 1
; COMPUTE_PGM_RSRC2:SCRATCH_EN: 0
; COMPUTE_PGM_RSRC2:USER_SGPR: 2
; COMPUTE_PGM_RSRC2:TRAP_HANDLER: 0
; COMPUTE_PGM_RSRC2:TGID_X_EN: 1
; COMPUTE_PGM_RSRC2:TGID_Y_EN: 0
; COMPUTE_PGM_RSRC2:TGID_Z_EN: 0
; COMPUTE_PGM_RSRC2:TIDIG_COMP_CNT: 0
	.section	.text._ZN2at6native12_GLOBAL__N_137multilabel_margin_loss_forward_kernelIN3c108BFloat16EfEEvPT_PKS5_PKlS6_iib,"axG",@progbits,_ZN2at6native12_GLOBAL__N_137multilabel_margin_loss_forward_kernelIN3c108BFloat16EfEEvPT_PKS5_PKlS6_iib,comdat
	.globl	_ZN2at6native12_GLOBAL__N_137multilabel_margin_loss_forward_kernelIN3c108BFloat16EfEEvPT_PKS5_PKlS6_iib ; -- Begin function _ZN2at6native12_GLOBAL__N_137multilabel_margin_loss_forward_kernelIN3c108BFloat16EfEEvPT_PKS5_PKlS6_iib
	.p2align	8
	.type	_ZN2at6native12_GLOBAL__N_137multilabel_margin_loss_forward_kernelIN3c108BFloat16EfEEvPT_PKS5_PKlS6_iib,@function
_ZN2at6native12_GLOBAL__N_137multilabel_margin_loss_forward_kernelIN3c108BFloat16EfEEvPT_PKS5_PKlS6_iib: ; @_ZN2at6native12_GLOBAL__N_137multilabel_margin_loss_forward_kernelIN3c108BFloat16EfEEvPT_PKS5_PKlS6_iib
; %bb.0:
	s_clause 0x1
	s_load_b96 s[12:14], s[0:1], 0x20
	s_load_b256 s[4:11], s[0:1], 0x0
	s_bfe_u32 s2, ttmp6, 0x4000c
	s_and_b32 s3, ttmp6, 15
	s_add_co_i32 s2, s2, 1
	s_getreg_b32 s15, hwreg(HW_REG_IB_STS2, 6, 4)
	s_mul_i32 s2, ttmp9, s2
	s_delay_alu instid0(SALU_CYCLE_1)
	s_add_co_i32 s3, s3, s2
	s_cmp_eq_u32 s15, 0
	s_mov_b32 s2, 0
	s_cselect_b32 s15, ttmp9, s3
	s_wait_kmcnt 0x0
	s_mul_i32 s18, s13, s15
	v_cmp_gt_i32_e64 s3, s13, v0
	s_ashr_i32 s19, s18, 31
	s_delay_alu instid0(SALU_CYCLE_1) | instskip(NEXT) | instid1(SALU_CYCLE_1)
	s_lshl_b64 s[16:17], s[18:19], 1
	s_add_nc_u64 s[10:11], s[10:11], s[16:17]
	s_and_saveexec_b32 s20, s3
	s_cbranch_execz .LBB3_3
; %bb.1:
	s_load_b32 s21, s[0:1], 0x3c
	v_dual_mov_b32 v1, 0 :: v_dual_mov_b32 v2, v0
	s_wait_kmcnt 0x0
	s_and_b32 s21, s21, 0xffff
.LBB3_2:                                ; =>This Inner Loop Header: Depth=1
	global_store_b16 v2, v1, s[10:11] scale_offset
	s_wait_xcnt 0x0
	v_add_nc_u32_e32 v2, s21, v2
	s_delay_alu instid0(VALU_DEP_1) | instskip(SKIP_1) | instid1(SALU_CYCLE_1)
	v_cmp_le_i32_e32 vcc_lo, s13, v2
	s_or_b32 s2, vcc_lo, s2
	s_and_not1_b32 exec_lo, exec_lo, s2
	s_cbranch_execnz .LBB3_2
.LBB3_3:
	s_or_b32 exec_lo, exec_lo, s20
	s_lshl_b64 s[18:19], s[18:19], 3
	v_cmp_eq_u32_e64 s2, 0, v0
	s_cmp_gt_i32 s13, 0
	s_add_nc_u64 s[8:9], s[8:9], s[18:19]
	s_cselect_b32 s22, -1, 0
	s_wait_storecnt 0x0
	s_and_b32 s18, s2, s22
	s_barrier_signal -1
	s_barrier_wait -1
	s_and_saveexec_b32 s23, s18
	s_cbranch_execz .LBB3_8
; %bb.4:
	v_mov_b32_e32 v1, 0x3f80
	s_mov_b64 s[18:19], s[8:9]
	s_mov_b32 s24, s13
	s_branch .LBB3_6
.LBB3_5:                                ;   in Loop: Header=BB3_6 Depth=1
	s_and_not1_b32 vcc_lo, exec_lo, s21
	s_cbranch_vccz .LBB3_8
.LBB3_6:                                ; =>This Inner Loop Header: Depth=1
	s_load_b64 s[20:21], s[18:19], 0x0
	s_wait_kmcnt 0x0
	s_bitcmp1_b64 s[20:21], 31
	s_mov_b32 s21, -1
	s_cbranch_scc1 .LBB3_5
; %bb.7:                                ;   in Loop: Header=BB3_6 Depth=1
	s_add_co_i32 s24, s24, -1
	v_mov_b32_e32 v2, s20
	s_cmp_eq_u32 s24, 0
	s_wait_xcnt 0x0
	s_add_nc_u64 s[18:19], s[18:19], 8
	s_cselect_b32 s21, -1, 0
	global_store_b16 v2, v1, s[10:11] scale_offset
	s_branch .LBB3_5
.LBB3_8:
	s_wait_xcnt 0x0
	s_or_b32 exec_lo, exec_lo, s23
	v_mov_b32_e32 v1, 0
	s_and_not1_b32 vcc_lo, exec_lo, s22
	s_wait_storecnt 0x0
	s_barrier_signal -1
	s_barrier_wait -1
	s_cbranch_vccnz .LBB3_19
; %bb.9:
	s_add_nc_u64 s[6:7], s[6:7], s[16:17]
	s_add_nc_u64 s[16:17], s[0:1], 48
	s_mov_b32 s20, 0
	s_branch .LBB3_11
.LBB3_10:                               ;   in Loop: Header=BB3_11 Depth=1
                                        ; implicit-def: $sgpr20
	s_and_b32 vcc_lo, exec_lo, s19
	s_cbranch_vccnz .LBB3_19
.LBB3_11:                               ; =>This Loop Header: Depth=1
                                        ;     Child Loop BB3_15 Depth 2
	s_load_b64 s[18:19], s[8:9], s20 offset:0x0 scale_offset
	s_wait_kmcnt 0x0
	s_bitcmp1_b64 s[18:19], 31
	s_mov_b32 s19, -1
	s_cbranch_scc1 .LBB3_10
; %bb.12:                               ;   in Loop: Header=BB3_11 Depth=1
	s_and_saveexec_b32 s19, s3
	s_cbranch_execz .LBB3_18
; %bb.13:                               ;   in Loop: Header=BB3_11 Depth=1
	v_mov_b32_e32 v2, s18
	s_load_b32 s21, s[16:17], 0xc
	global_load_u16 v2, v2, s[6:7] scale_offset
	s_wait_loadcnt 0x0
	v_readfirstlane_b32 s18, v2
	v_mov_b32_e32 v2, v0
	s_lshl_b32 s18, s18, 16
	s_delay_alu instid0(SALU_CYCLE_1) | instskip(NEXT) | instid1(SALU_CYCLE_3)
	s_sub_f32 s18, 1.0, s18
	s_bfe_u32 s22, s18, 0x10010
	s_delay_alu instid0(SALU_CYCLE_1) | instskip(NEXT) | instid1(SALU_CYCLE_1)
	s_add_co_i32 s22, s18, s22
	s_addk_co_i32 s22, 0x7fff
	s_delay_alu instid0(SALU_CYCLE_1)
	s_and_b32 s22, s22, 0xffff0000
	s_cmp_o_f32 s18, s18
	s_cselect_b32 s18, s22, 0x7fc00000
	s_wait_kmcnt 0x0
	s_and_b32 s22, s21, 0xffff
	s_mov_b32 s21, 0
	s_branch .LBB3_15
.LBB3_14:                               ;   in Loop: Header=BB3_15 Depth=2
	s_or_b32 exec_lo, exec_lo, s23
	v_add_nc_u32_e32 v2, s22, v2
	s_delay_alu instid0(VALU_DEP_1) | instskip(SKIP_1) | instid1(SALU_CYCLE_1)
	v_cmp_le_i32_e32 vcc_lo, s13, v2
	s_or_b32 s21, vcc_lo, s21
	s_and_not1_b32 exec_lo, exec_lo, s21
	s_cbranch_execz .LBB3_17
.LBB3_15:                               ;   Parent Loop BB3_11 Depth=1
                                        ; =>  This Inner Loop Header: Depth=2
	global_load_u16 v3, v2, s[10:11] scale_offset
	s_mov_b32 s23, exec_lo
	s_wait_loadcnt 0x0
	v_lshlrev_b32_e32 v3, 16, v3
	s_delay_alu instid0(VALU_DEP_1) | instskip(SKIP_1) | instid1(VALU_DEP_2)
	v_cvt_i32_f32_e32 v4, v3
	v_ashrrev_i32_e32 v3, 31, v2
	v_cmpx_eq_u32_e32 0, v4
	s_cbranch_execz .LBB3_14
; %bb.16:                               ;   in Loop: Header=BB3_15 Depth=2
	s_delay_alu instid0(VALU_DEP_2) | instskip(SKIP_3) | instid1(VALU_DEP_1)
	v_lshl_add_u64 v[4:5], v[2:3], 1, s[6:7]
	global_load_u16 v3, v[4:5], off
	s_wait_loadcnt 0x0
	v_lshlrev_b32_e32 v3, 16, v3
	v_add_f32_e32 v3, s18, v3
	s_delay_alu instid0(VALU_DEP_1) | instskip(SKIP_1) | instid1(VALU_DEP_2)
	v_bfe_u32 v4, v3, 16, 1
	v_cmp_o_f32_e32 vcc_lo, v3, v3
	v_add3_u32 v4, v3, v4, 0x7fff
	s_delay_alu instid0(VALU_DEP_1) | instskip(NEXT) | instid1(VALU_DEP_1)
	v_and_b32_e32 v4, 0xffff0000, v4
	v_cndmask_b32_e32 v3, 0x7fc00000, v4, vcc_lo
	s_delay_alu instid0(VALU_DEP_1) | instskip(SKIP_1) | instid1(VALU_DEP_2)
	v_add_f32_e32 v4, v1, v3
	v_cmp_lt_f32_e32 vcc_lo, 0, v3
	v_cndmask_b32_e32 v1, v1, v4, vcc_lo
	s_branch .LBB3_14
.LBB3_17:                               ;   in Loop: Header=BB3_11 Depth=1
	s_or_b32 exec_lo, exec_lo, s21
.LBB3_18:                               ;   in Loop: Header=BB3_11 Depth=1
	s_delay_alu instid0(SALU_CYCLE_1) | instskip(SKIP_1) | instid1(SALU_CYCLE_1)
	s_or_b32 exec_lo, exec_lo, s19
	s_add_co_i32 s20, s20, 1
	s_cmp_eq_u32 s20, s13
	s_cselect_b32 s19, -1, 0
	s_delay_alu instid0(SALU_CYCLE_1)
	s_and_b32 vcc_lo, exec_lo, s19
	s_cbranch_vccz .LBB3_11
.LBB3_19:
	v_mbcnt_lo_u32_b32 v5, -1, 0
	s_mov_b32 s3, exec_lo
	s_barrier_signal -1
	s_barrier_wait -1
	s_delay_alu instid0(VALU_DEP_1) | instskip(SKIP_4) | instid1(VALU_DEP_2)
	v_lshl_or_b32 v2, v5, 2, 64
	v_cmp_gt_u32_e32 vcc_lo, 24, v5
	ds_bpermute_b32 v4, v2, v1
	v_cndmask_b32_e64 v3, 0, 8, vcc_lo
	v_cmp_gt_u32_e32 vcc_lo, 28, v5
	v_add_lshl_u32 v3, v3, v5, 2
	s_wait_dscnt 0x0
	v_add_f32_e32 v4, v1, v4
	v_cndmask_b32_e64 v1, 0, 4, vcc_lo
	v_cmp_gt_u32_e32 vcc_lo, 30, v5
	ds_bpermute_b32 v6, v3, v4
	v_add_lshl_u32 v1, v1, v5, 2
	s_wait_dscnt 0x0
	v_add_f32_e32 v6, v4, v6
	v_cndmask_b32_e64 v4, 0, 2, vcc_lo
	v_cmp_ne_u32_e32 vcc_lo, 31, v5
	s_delay_alu instid0(VALU_DEP_2) | instskip(SKIP_1) | instid1(VALU_DEP_1)
	v_add_lshl_u32 v4, v4, v5, 2
	v_add_co_ci_u32_e64 v5, null, 0, v5, vcc_lo
	v_lshlrev_b32_e32 v5, 2, v5
	ds_bpermute_b32 v7, v1, v6
	s_wait_dscnt 0x0
	v_add_f32_e32 v6, v6, v7
	ds_bpermute_b32 v7, v4, v6
	s_wait_dscnt 0x0
	v_dual_add_f32 v6, v6, v7 :: v_dual_bitop2_b32 v7, 31, v0 bitop3:0x40
	ds_bpermute_b32 v8, v5, v6
	v_cmpx_eq_u32_e32 0, v7
	s_cbranch_execz .LBB3_21
; %bb.20:
	s_wait_dscnt 0x0
	v_add_f32_e32 v6, v6, v8
	v_lshrrev_b32_e32 v8, 3, v0
	ds_store_b32 v8, v6
.LBB3_21:
	s_or_b32 exec_lo, exec_lo, s3
	s_wait_dscnt 0x0
	s_barrier_signal -1
	s_barrier_wait -1
	s_load_b32 s0, s[0:1], 0x3c
	v_mov_b32_e32 v6, 0
	s_wait_kmcnt 0x0
	s_bfe_u32 s0, s0, 0xb0005
	s_delay_alu instid0(SALU_CYCLE_1)
	v_cmp_gt_u32_e32 vcc_lo, s0, v0
	s_and_saveexec_b32 s0, vcc_lo
; %bb.22:
	v_lshlrev_b32_e32 v6, 2, v7
	ds_load_b32 v6, v6
; %bb.23:
	s_or_b32 exec_lo, exec_lo, s0
	s_delay_alu instid0(SALU_CYCLE_1)
	s_mov_b32 s0, exec_lo
	v_cmpx_gt_u32_e32 32, v0
	s_cbranch_execnz .LBB3_26
; %bb.24:
	s_or_b32 exec_lo, exec_lo, s0
	s_and_saveexec_b32 s0, s2
	s_cbranch_execnz .LBB3_27
.LBB3_25:
	s_endpgm
.LBB3_26:
	s_wait_dscnt 0x0
	ds_bpermute_b32 v0, v2, v6
	s_wait_dscnt 0x0
	v_add_f32_e32 v0, v6, v0
	ds_bpermute_b32 v2, v3, v0
	s_wait_dscnt 0x0
	v_add_f32_e32 v0, v0, v2
	;; [unrolled: 3-line block ×5, first 2 shown]
	s_or_b32 exec_lo, exec_lo, s0
	s_and_saveexec_b32 s0, s2
	s_cbranch_execz .LBB3_25
.LBB3_27:
	s_cvt_f32_i32 s0, s13
	s_bitcmp0_b32 s14, 0
	s_wait_dscnt 0x0
	s_delay_alu instid0(SALU_CYCLE_1) | instskip(NEXT) | instid1(VALU_DEP_1)
	v_div_scale_f32 v0, null, s0, s0, v6
	v_rcp_f32_e32 v1, v0
	v_nop
	s_delay_alu instid0(TRANS32_DEP_1) | instskip(NEXT) | instid1(VALU_DEP_1)
	v_fma_f32 v2, -v0, v1, 1.0
	v_fmac_f32_e32 v1, v2, v1
	v_div_scale_f32 v2, vcc_lo, v6, s0, v6
	s_delay_alu instid0(VALU_DEP_1) | instskip(NEXT) | instid1(VALU_DEP_1)
	v_mul_f32_e32 v3, v2, v1
	v_fma_f32 v4, -v0, v3, v2
	s_delay_alu instid0(VALU_DEP_1) | instskip(NEXT) | instid1(VALU_DEP_1)
	v_fmac_f32_e32 v3, v4, v1
	v_fma_f32 v0, -v0, v3, v2
	s_delay_alu instid0(VALU_DEP_1) | instskip(NEXT) | instid1(VALU_DEP_1)
	v_div_fmas_f32 v0, v0, v1, v3
	v_div_fixup_f32 v0, v0, s0, v6
	s_cbranch_scc1 .LBB3_29
; %bb.28:
	s_cvt_f32_i32 s0, s12
	s_delay_alu instid0(VALU_DEP_1) | instid1(SALU_CYCLE_3)
	v_div_scale_f32 v1, null, s0, s0, v0
	s_delay_alu instid0(VALU_DEP_1) | instskip(SKIP_1) | instid1(TRANS32_DEP_1)
	v_rcp_f32_e32 v2, v1
	v_nop
	v_fma_f32 v3, -v1, v2, 1.0
	s_delay_alu instid0(VALU_DEP_1) | instskip(SKIP_1) | instid1(VALU_DEP_1)
	v_fmac_f32_e32 v2, v3, v2
	v_div_scale_f32 v3, vcc_lo, v0, s0, v0
	v_mul_f32_e32 v4, v3, v2
	s_delay_alu instid0(VALU_DEP_1) | instskip(NEXT) | instid1(VALU_DEP_1)
	v_fma_f32 v5, -v1, v4, v3
	v_fmac_f32_e32 v4, v5, v2
	s_delay_alu instid0(VALU_DEP_1) | instskip(NEXT) | instid1(VALU_DEP_1)
	v_fma_f32 v1, -v1, v4, v3
	v_div_fmas_f32 v1, v1, v2, v4
	s_delay_alu instid0(VALU_DEP_1)
	v_div_fixup_f32 v0, v1, s0, v0
.LBB3_29:
	s_delay_alu instid0(VALU_DEP_1) | instskip(SKIP_1) | instid1(VALU_DEP_2)
	v_bfe_u32 v1, v0, 16, 1
	v_cmp_o_f32_e32 vcc_lo, v0, v0
	v_add3_u32 v1, v0, v1, 0x7fff
	s_delay_alu instid0(VALU_DEP_1) | instskip(NEXT) | instid1(VALU_DEP_1)
	v_lshrrev_b32_e32 v1, 16, v1
	v_cndmask_b32_e32 v0, 0x7fc0, v1, vcc_lo
	v_mov_b32_e32 v1, s15
	global_store_b16 v1, v0, s[4:5] scale_offset
	s_endpgm
	.section	.rodata,"a",@progbits
	.p2align	6, 0x0
	.amdhsa_kernel _ZN2at6native12_GLOBAL__N_137multilabel_margin_loss_forward_kernelIN3c108BFloat16EfEEvPT_PKS5_PKlS6_iib
		.amdhsa_group_segment_fixed_size 512
		.amdhsa_private_segment_fixed_size 0
		.amdhsa_kernarg_size 304
		.amdhsa_user_sgpr_count 2
		.amdhsa_user_sgpr_dispatch_ptr 0
		.amdhsa_user_sgpr_queue_ptr 0
		.amdhsa_user_sgpr_kernarg_segment_ptr 1
		.amdhsa_user_sgpr_dispatch_id 0
		.amdhsa_user_sgpr_kernarg_preload_length 0
		.amdhsa_user_sgpr_kernarg_preload_offset 0
		.amdhsa_user_sgpr_private_segment_size 0
		.amdhsa_wavefront_size32 1
		.amdhsa_uses_dynamic_stack 0
		.amdhsa_enable_private_segment 0
		.amdhsa_system_sgpr_workgroup_id_x 1
		.amdhsa_system_sgpr_workgroup_id_y 0
		.amdhsa_system_sgpr_workgroup_id_z 0
		.amdhsa_system_sgpr_workgroup_info 0
		.amdhsa_system_vgpr_workitem_id 0
		.amdhsa_next_free_vgpr 9
		.amdhsa_next_free_sgpr 25
		.amdhsa_named_barrier_count 0
		.amdhsa_reserve_vcc 1
		.amdhsa_float_round_mode_32 0
		.amdhsa_float_round_mode_16_64 0
		.amdhsa_float_denorm_mode_32 3
		.amdhsa_float_denorm_mode_16_64 3
		.amdhsa_fp16_overflow 0
		.amdhsa_memory_ordered 1
		.amdhsa_forward_progress 1
		.amdhsa_inst_pref_size 12
		.amdhsa_round_robin_scheduling 0
		.amdhsa_exception_fp_ieee_invalid_op 0
		.amdhsa_exception_fp_denorm_src 0
		.amdhsa_exception_fp_ieee_div_zero 0
		.amdhsa_exception_fp_ieee_overflow 0
		.amdhsa_exception_fp_ieee_underflow 0
		.amdhsa_exception_fp_ieee_inexact 0
		.amdhsa_exception_int_div_zero 0
	.end_amdhsa_kernel
	.section	.text._ZN2at6native12_GLOBAL__N_137multilabel_margin_loss_forward_kernelIN3c108BFloat16EfEEvPT_PKS5_PKlS6_iib,"axG",@progbits,_ZN2at6native12_GLOBAL__N_137multilabel_margin_loss_forward_kernelIN3c108BFloat16EfEEvPT_PKS5_PKlS6_iib,comdat
.Lfunc_end3:
	.size	_ZN2at6native12_GLOBAL__N_137multilabel_margin_loss_forward_kernelIN3c108BFloat16EfEEvPT_PKS5_PKlS6_iib, .Lfunc_end3-_ZN2at6native12_GLOBAL__N_137multilabel_margin_loss_forward_kernelIN3c108BFloat16EfEEvPT_PKS5_PKlS6_iib
                                        ; -- End function
	.set _ZN2at6native12_GLOBAL__N_137multilabel_margin_loss_forward_kernelIN3c108BFloat16EfEEvPT_PKS5_PKlS6_iib.num_vgpr, 9
	.set _ZN2at6native12_GLOBAL__N_137multilabel_margin_loss_forward_kernelIN3c108BFloat16EfEEvPT_PKS5_PKlS6_iib.num_agpr, 0
	.set _ZN2at6native12_GLOBAL__N_137multilabel_margin_loss_forward_kernelIN3c108BFloat16EfEEvPT_PKS5_PKlS6_iib.numbered_sgpr, 25
	.set _ZN2at6native12_GLOBAL__N_137multilabel_margin_loss_forward_kernelIN3c108BFloat16EfEEvPT_PKS5_PKlS6_iib.num_named_barrier, 0
	.set _ZN2at6native12_GLOBAL__N_137multilabel_margin_loss_forward_kernelIN3c108BFloat16EfEEvPT_PKS5_PKlS6_iib.private_seg_size, 0
	.set _ZN2at6native12_GLOBAL__N_137multilabel_margin_loss_forward_kernelIN3c108BFloat16EfEEvPT_PKS5_PKlS6_iib.uses_vcc, 1
	.set _ZN2at6native12_GLOBAL__N_137multilabel_margin_loss_forward_kernelIN3c108BFloat16EfEEvPT_PKS5_PKlS6_iib.uses_flat_scratch, 0
	.set _ZN2at6native12_GLOBAL__N_137multilabel_margin_loss_forward_kernelIN3c108BFloat16EfEEvPT_PKS5_PKlS6_iib.has_dyn_sized_stack, 0
	.set _ZN2at6native12_GLOBAL__N_137multilabel_margin_loss_forward_kernelIN3c108BFloat16EfEEvPT_PKS5_PKlS6_iib.has_recursion, 0
	.set _ZN2at6native12_GLOBAL__N_137multilabel_margin_loss_forward_kernelIN3c108BFloat16EfEEvPT_PKS5_PKlS6_iib.has_indirect_call, 0
	.section	.AMDGPU.csdata,"",@progbits
; Kernel info:
; codeLenInByte = 1424
; TotalNumSgprs: 27
; NumVgprs: 9
; ScratchSize: 0
; MemoryBound: 0
; FloatMode: 240
; IeeeMode: 1
; LDSByteSize: 512 bytes/workgroup (compile time only)
; SGPRBlocks: 0
; VGPRBlocks: 0
; NumSGPRsForWavesPerEU: 27
; NumVGPRsForWavesPerEU: 9
; NamedBarCnt: 0
; Occupancy: 16
; WaveLimiterHint : 1
; COMPUTE_PGM_RSRC2:SCRATCH_EN: 0
; COMPUTE_PGM_RSRC2:USER_SGPR: 2
; COMPUTE_PGM_RSRC2:TRAP_HANDLER: 0
; COMPUTE_PGM_RSRC2:TGID_X_EN: 1
; COMPUTE_PGM_RSRC2:TGID_Y_EN: 0
; COMPUTE_PGM_RSRC2:TGID_Z_EN: 0
; COMPUTE_PGM_RSRC2:TIDIG_COMP_CNT: 0
	.section	.text._ZN2at6native12_GLOBAL__N_138multilabel_margin_loss_backward_kernelIddEEvPT_PKS3_S6_PKlS6_iibb,"axG",@progbits,_ZN2at6native12_GLOBAL__N_138multilabel_margin_loss_backward_kernelIddEEvPT_PKS3_S6_PKlS6_iibb,comdat
	.globl	_ZN2at6native12_GLOBAL__N_138multilabel_margin_loss_backward_kernelIddEEvPT_PKS3_S6_PKlS6_iibb ; -- Begin function _ZN2at6native12_GLOBAL__N_138multilabel_margin_loss_backward_kernelIddEEvPT_PKS3_S6_PKlS6_iibb
	.p2align	8
	.type	_ZN2at6native12_GLOBAL__N_138multilabel_margin_loss_backward_kernelIddEEvPT_PKS3_S6_PKlS6_iibb,@function
_ZN2at6native12_GLOBAL__N_138multilabel_margin_loss_backward_kernelIddEEvPT_PKS3_S6_PKlS6_iibb: ; @_ZN2at6native12_GLOBAL__N_138multilabel_margin_loss_backward_kernelIddEEvPT_PKS3_S6_PKlS6_iibb
; %bb.0:
	s_clause 0x2
	s_load_b96 s[12:14], s[0:1], 0x28
	s_load_b256 s[4:11], s[0:1], 0x0
	s_load_b64 s[18:19], s[0:1], 0x20
	s_bfe_u32 s2, ttmp6, 0x4000c
	s_and_b32 s3, ttmp6, 15
	s_add_co_i32 s2, s2, 1
	s_getreg_b32 s15, hwreg(HW_REG_IB_STS2, 6, 4)
	s_mul_i32 s2, ttmp9, s2
	s_delay_alu instid0(SALU_CYCLE_1)
	s_add_co_i32 s3, s3, s2
	s_cmp_eq_u32 s15, 0
	s_cselect_b32 s22, ttmp9, s3
	s_mov_b32 s3, 0
	s_wait_kmcnt 0x0
	s_mul_i32 s16, s13, s22
	v_cmp_gt_i32_e64 s2, s13, v0
	s_ashr_i32 s17, s16, 31
	s_delay_alu instid0(SALU_CYCLE_1) | instskip(NEXT) | instid1(SALU_CYCLE_1)
	s_lshl_b64 s[20:21], s[16:17], 3
	s_add_nc_u64 s[16:17], s[4:5], s[20:21]
	s_and_saveexec_b32 s4, s2
	s_cbranch_execz .LBB4_3
; %bb.1:
	s_load_b32 s5, s[0:1], 0x44
	v_mov_b64_e32 v[2:3], 0
	v_mov_b32_e32 v1, v0
	s_wait_kmcnt 0x0
	s_and_b32 s5, s5, 0xffff
.LBB4_2:                                ; =>This Inner Loop Header: Depth=1
	global_store_b64 v1, v[2:3], s[16:17] scale_offset
	s_wait_xcnt 0x0
	v_add_nc_u32_e32 v1, s5, v1
	s_delay_alu instid0(VALU_DEP_1) | instskip(SKIP_1) | instid1(SALU_CYCLE_1)
	v_cmp_le_i32_e32 vcc_lo, s13, v1
	s_or_b32 s3, vcc_lo, s3
	s_and_not1_b32 exec_lo, exec_lo, s3
	s_cbranch_execnz .LBB4_2
.LBB4_3:
	s_or_b32 exec_lo, exec_lo, s4
	s_load_b32 s3, s[0:1], 0x30
	s_wait_storecnt 0x0
	s_barrier_signal -1
	s_barrier_wait -1
	s_wait_kmcnt 0x0
	s_bitcmp1_b32 s3, 8
	s_cselect_b32 s23, -1, 0
	s_cmp_lt_i32 s13, 1
	s_cbranch_scc1 .LBB4_24
; %bb.4:
	s_bitcmp1_b32 s14, 0
	v_mbcnt_lo_u32_b32 v12, -1, 0
	s_cselect_b32 s3, -1, 0
	v_cmp_gt_u32_e64 s4, 32, v0
	s_and_b32 s3, s3, s23
	v_cmp_eq_u32_e64 s5, 0, v0
	s_and_b32 s3, s3, exec_lo
	s_cselect_b32 s3, s12, 1
	v_lshl_or_b32 v14, v12, 2, 64
	s_mul_i32 s3, s3, s13
	s_add_nc_u64 s[8:9], s[8:9], s[20:21]
	v_cvt_f64_i32_e32 v[2:3], s3
	s_add_nc_u64 s[10:11], s[10:11], s[20:21]
	s_add_nc_u64 s[14:15], s[18:19], s[20:21]
	;; [unrolled: 1-line block ×3, first 2 shown]
	s_mov_b32 s12, 0
	v_lshrrev_b32_e32 v1, 2, v0
	s_delay_alu instid0(VALU_DEP_2) | instskip(NEXT) | instid1(VALU_DEP_1)
	v_div_scale_f64 v[4:5], null, v[2:3], v[2:3], 1.0
	v_rcp_f64_e32 v[6:7], v[4:5]
	v_nop
	s_delay_alu instid0(TRANS32_DEP_1) | instskip(NEXT) | instid1(VALU_DEP_1)
	v_fma_f64 v[8:9], -v[4:5], v[6:7], 1.0
	v_fmac_f64_e32 v[6:7], v[6:7], v[8:9]
	s_delay_alu instid0(VALU_DEP_1) | instskip(NEXT) | instid1(VALU_DEP_1)
	v_fma_f64 v[8:9], -v[4:5], v[6:7], 1.0
	v_fmac_f64_e32 v[6:7], v[6:7], v[8:9]
	v_div_scale_f64 v[8:9], vcc_lo, 1.0, v[2:3], 1.0
	s_delay_alu instid0(VALU_DEP_1) | instskip(NEXT) | instid1(VALU_DEP_1)
	v_mul_f64_e32 v[10:11], v[8:9], v[6:7]
	v_fma_f64 v[4:5], -v[4:5], v[10:11], v[8:9]
	s_delay_alu instid0(VALU_DEP_1) | instskip(NEXT) | instid1(VALU_DEP_1)
	v_div_fmas_f64 v[4:5], v[4:5], v[6:7], v[10:11]
	v_div_fixup_f64 v[2:3], v[4:5], v[2:3], 1.0
	v_dual_mov_b32 v5, 0 :: v_dual_bitop2_b32 v4, 31, v0 bitop3:0x40
	s_delay_alu instid0(VALU_DEP_1)
	v_lshlrev_b32_e32 v13, 3, v4
	v_cmp_eq_u32_e64 s3, 0, v4
	s_branch .LBB4_7
.LBB4_5:                                ;   in Loop: Header=BB4_7 Depth=1
	s_wait_xcnt 0x0
	s_or_b32 exec_lo, exec_lo, s24
	s_add_co_i32 s12, s12, 1
	s_delay_alu instid0(SALU_CYCLE_1)
	s_cmp_eq_u32 s12, s13
	s_cselect_b32 s24, -1, 0
.LBB4_6:                                ;   in Loop: Header=BB4_7 Depth=1
	s_delay_alu instid0(SALU_CYCLE_1)
	s_and_b32 vcc_lo, exec_lo, s24
	s_cbranch_vccnz .LBB4_24
.LBB4_7:                                ; =>This Loop Header: Depth=1
                                        ;     Child Loop BB4_12 Depth 2
	v_mov_b32_e32 v4, s12
	s_mov_b32 s24, -1
	s_wait_dscnt 0x0
	global_load_b64 v[6:7], v4, s[10:11] scale_offset
	s_wait_loadcnt 0x0
	s_wait_xcnt 0x0
	v_and_b32_e32 v4, 0x80000000, v6
	v_readfirstlane_b32 s20, v6
	v_readfirstlane_b32 s21, v7
	s_delay_alu instid0(VALU_DEP_3)
	v_cmp_ne_u64_e32 vcc_lo, 0, v[4:5]
	s_cbranch_vccnz .LBB4_6
; %bb.8:                                ;   in Loop: Header=BB4_7 Depth=1
	v_mov_b64_e32 v[6:7], 0
	s_and_b64 s[20:21], s[20:21], 0x7fffffff
	s_and_saveexec_b32 s24, s2
	s_cbranch_execz .LBB4_16
; %bb.9:                                ;   in Loop: Header=BB4_7 Depth=1
	s_lshl_b64 s[26:27], s[20:21], 3
	s_load_b32 s25, s[18:19], 0xc
	s_add_nc_u64 s[26:27], s[8:9], s[26:27]
	v_mov_b32_e32 v10, v0
	global_load_b64 v[6:7], v5, s[26:27]
	s_wait_kmcnt 0x0
	s_wait_xcnt 0x0
	s_and_b32 s26, s25, 0xffff
	s_mov_b32 s25, 0
	s_wait_loadcnt 0x0
	v_add_f64_e64 v[8:9], -v[6:7], 1.0
	v_mov_b64_e32 v[6:7], 0
	s_branch .LBB4_12
.LBB4_10:                               ;   in Loop: Header=BB4_12 Depth=2
	s_wait_xcnt 0x0
	s_or_b32 exec_lo, exec_lo, s28
.LBB4_11:                               ;   in Loop: Header=BB4_12 Depth=2
	s_delay_alu instid0(SALU_CYCLE_1) | instskip(SKIP_1) | instid1(VALU_DEP_1)
	s_or_b32 exec_lo, exec_lo, s27
	v_add_nc_u32_e32 v10, s26, v10
	v_cmp_le_i32_e32 vcc_lo, s13, v10
	s_or_b32 s25, vcc_lo, s25
	s_delay_alu instid0(SALU_CYCLE_1)
	s_and_not1_b32 exec_lo, exec_lo, s25
	s_cbranch_execz .LBB4_15
.LBB4_12:                               ;   Parent Loop BB4_7 Depth=1
                                        ; =>  This Inner Loop Header: Depth=2
	global_load_b64 v[16:17], v10, s[14:15] scale_offset
	v_ashrrev_i32_e32 v11, 31, v10
	s_mov_b32 s27, exec_lo
	s_wait_loadcnt 0x0
	v_cvt_i32_f64_e32 v4, v[16:17]
	s_wait_xcnt 0x0
	s_delay_alu instid0(VALU_DEP_1)
	v_cmpx_eq_u32_e32 0, v4
	s_cbranch_execz .LBB4_11
; %bb.13:                               ;   in Loop: Header=BB4_12 Depth=2
	v_lshl_add_u64 v[16:17], v[10:11], 3, s[8:9]
	s_mov_b32 s28, exec_lo
	global_load_b64 v[16:17], v[16:17], off
	s_wait_loadcnt 0x0
	s_wait_xcnt 0x0
	v_add_f64_e32 v[16:17], v[8:9], v[16:17]
	s_delay_alu instid0(VALU_DEP_1)
	v_cmpx_lt_f64_e32 0, v[16:17]
	s_cbranch_execz .LBB4_10
; %bb.14:                               ;   in Loop: Header=BB4_12 Depth=2
	v_lshl_add_u64 v[16:17], v[10:11], 3, s[16:17]
	v_add_f64_e64 v[6:7], v[6:7], -v[2:3]
	global_load_b64 v[18:19], v[16:17], off
	s_wait_loadcnt 0x0
	v_add_f64_e32 v[18:19], v[2:3], v[18:19]
	global_store_b64 v[16:17], v[18:19], off
	s_branch .LBB4_10
.LBB4_15:                               ;   in Loop: Header=BB4_7 Depth=1
	s_or_b32 exec_lo, exec_lo, s25
.LBB4_16:                               ;   in Loop: Header=BB4_7 Depth=1
	s_delay_alu instid0(SALU_CYCLE_1)
	s_or_b32 exec_lo, exec_lo, s24
	ds_bpermute_b32 v8, v14, v6
	ds_bpermute_b32 v9, v14, v7
	v_cmp_gt_u32_e32 vcc_lo, 24, v12
	s_wait_storecnt_dscnt 0x0
	s_barrier_signal -1
	s_barrier_wait -1
	v_cndmask_b32_e64 v4, 0, 8, vcc_lo
	v_cmp_gt_u32_e32 vcc_lo, 28, v12
	s_barrier_signal -1
	s_barrier_wait -1
	s_delay_alu instid0(VALU_DEP_2)
	v_add_lshl_u32 v4, v4, v12, 2
	v_add_f64_e32 v[6:7], v[6:7], v[8:9]
	ds_bpermute_b32 v8, v4, v6
	ds_bpermute_b32 v9, v4, v7
	s_wait_dscnt 0x0
	v_add_f64_e32 v[6:7], v[6:7], v[8:9]
	v_cndmask_b32_e64 v8, 0, 4, vcc_lo
	v_cmp_gt_u32_e32 vcc_lo, 30, v12
	s_delay_alu instid0(VALU_DEP_2)
	v_add_lshl_u32 v10, v8, v12, 2
	ds_bpermute_b32 v8, v10, v6
	ds_bpermute_b32 v9, v10, v7
	s_wait_dscnt 0x0
	v_add_f64_e32 v[6:7], v[6:7], v[8:9]
	v_cndmask_b32_e64 v8, 0, 2, vcc_lo
	v_cmp_ne_u32_e32 vcc_lo, 31, v12
	s_delay_alu instid0(VALU_DEP_2)
	v_add_lshl_u32 v11, v8, v12, 2
	ds_bpermute_b32 v8, v11, v6
	ds_bpermute_b32 v9, v11, v7
	s_wait_dscnt 0x0
	v_add_f64_e32 v[6:7], v[6:7], v[8:9]
	v_add_co_ci_u32_e64 v8, null, 0, v12, vcc_lo
	s_delay_alu instid0(VALU_DEP_1)
	v_lshlrev_b32_e32 v15, 2, v8
	ds_bpermute_b32 v8, v15, v6
	ds_bpermute_b32 v9, v15, v7
	s_and_saveexec_b32 s24, s3
	s_cbranch_execz .LBB4_18
; %bb.17:                               ;   in Loop: Header=BB4_7 Depth=1
	s_wait_dscnt 0x0
	v_add_f64_e32 v[6:7], v[6:7], v[8:9]
	ds_store_b64 v1, v[6:7]
.LBB4_18:                               ;   in Loop: Header=BB4_7 Depth=1
	s_or_b32 exec_lo, exec_lo, s24
	s_wait_dscnt 0x0
	s_barrier_signal -1
	s_barrier_wait -1
	s_load_b32 s24, s[18:19], 0xc
	v_mov_b64_e32 v[6:7], 0
	s_wait_kmcnt 0x0
	s_bfe_u32 s24, s24, 0xb0005
	s_delay_alu instid0(SALU_CYCLE_1)
	v_cmp_gt_u32_e32 vcc_lo, s24, v0
	s_and_saveexec_b32 s24, vcc_lo
	s_cbranch_execnz .LBB4_21
; %bb.19:                               ;   in Loop: Header=BB4_7 Depth=1
	s_or_b32 exec_lo, exec_lo, s24
	s_and_saveexec_b32 s24, s4
	s_cbranch_execnz .LBB4_22
.LBB4_20:                               ;   in Loop: Header=BB4_7 Depth=1
	s_or_b32 exec_lo, exec_lo, s24
	s_and_saveexec_b32 s24, s5
	s_cbranch_execz .LBB4_5
	s_branch .LBB4_23
.LBB4_21:                               ;   in Loop: Header=BB4_7 Depth=1
	ds_load_b64 v[6:7], v13
	s_or_b32 exec_lo, exec_lo, s24
	s_and_saveexec_b32 s24, s4
	s_cbranch_execz .LBB4_20
.LBB4_22:                               ;   in Loop: Header=BB4_7 Depth=1
	s_wait_dscnt 0x0
	ds_bpermute_b32 v8, v14, v6
	ds_bpermute_b32 v9, v14, v7
	s_wait_dscnt 0x0
	v_add_f64_e32 v[6:7], v[6:7], v[8:9]
	ds_bpermute_b32 v8, v4, v6
	ds_bpermute_b32 v9, v4, v7
	s_wait_dscnt 0x0
	v_add_f64_e32 v[6:7], v[6:7], v[8:9]
	;; [unrolled: 4-line block ×5, first 2 shown]
	s_or_b32 exec_lo, exec_lo, s24
	s_and_saveexec_b32 s24, s5
	s_cbranch_execz .LBB4_5
.LBB4_23:                               ;   in Loop: Header=BB4_7 Depth=1
	s_lshl_b64 s[20:21], s[20:21], 3
	s_delay_alu instid0(SALU_CYCLE_1)
	s_add_nc_u64 s[20:21], s[16:17], s[20:21]
	global_load_b64 v[8:9], v5, s[20:21]
	s_wait_loadcnt_dscnt 0x0
	v_add_f64_e32 v[6:7], v[6:7], v[8:9]
	global_store_b64 v5, v[6:7], s[20:21]
	s_branch .LBB4_5
.LBB4_24:
	s_and_saveexec_b32 s3, s2
	s_cbranch_execz .LBB4_27
; %bb.25:
	s_load_b32 s3, s[0:1], 0x44
	s_wait_xcnt 0x0
	s_ashr_i32 s0, s22, 31
	s_and_b32 s1, s23, exec_lo
	s_cselect_b32 s1, 0, s0
	s_cselect_b32 s0, 0, s22
	v_mov_b32_e32 v1, 0
	s_lshl_b64 s[0:1], s[0:1], 3
	s_mov_b32 s2, 0
	s_add_nc_u64 s[0:1], s[6:7], s[0:1]
	s_wait_kmcnt 0x0
	s_and_b32 s3, s3, 0xffff
.LBB4_26:                               ; =>This Inner Loop Header: Depth=1
	global_load_b64 v[2:3], v1, s[0:1]
	global_load_b64 v[4:5], v0, s[16:17] scale_offset
	s_wait_loadcnt 0x0
	v_mul_f64_e32 v[2:3], v[2:3], v[4:5]
	global_store_b64 v0, v[2:3], s[16:17] scale_offset
	s_wait_xcnt 0x0
	v_add_nc_u32_e32 v0, s3, v0
	s_delay_alu instid0(VALU_DEP_1) | instskip(SKIP_1) | instid1(SALU_CYCLE_1)
	v_cmp_le_i32_e32 vcc_lo, s13, v0
	s_or_b32 s2, vcc_lo, s2
	s_and_not1_b32 exec_lo, exec_lo, s2
	s_cbranch_execnz .LBB4_26
.LBB4_27:
	s_endpgm
	.section	.rodata,"a",@progbits
	.p2align	6, 0x0
	.amdhsa_kernel _ZN2at6native12_GLOBAL__N_138multilabel_margin_loss_backward_kernelIddEEvPT_PKS3_S6_PKlS6_iibb
		.amdhsa_group_segment_fixed_size 1024
		.amdhsa_private_segment_fixed_size 0
		.amdhsa_kernarg_size 312
		.amdhsa_user_sgpr_count 2
		.amdhsa_user_sgpr_dispatch_ptr 0
		.amdhsa_user_sgpr_queue_ptr 0
		.amdhsa_user_sgpr_kernarg_segment_ptr 1
		.amdhsa_user_sgpr_dispatch_id 0
		.amdhsa_user_sgpr_kernarg_preload_length 0
		.amdhsa_user_sgpr_kernarg_preload_offset 0
		.amdhsa_user_sgpr_private_segment_size 0
		.amdhsa_wavefront_size32 1
		.amdhsa_uses_dynamic_stack 0
		.amdhsa_enable_private_segment 0
		.amdhsa_system_sgpr_workgroup_id_x 1
		.amdhsa_system_sgpr_workgroup_id_y 0
		.amdhsa_system_sgpr_workgroup_id_z 0
		.amdhsa_system_sgpr_workgroup_info 0
		.amdhsa_system_vgpr_workitem_id 0
		.amdhsa_next_free_vgpr 20
		.amdhsa_next_free_sgpr 29
		.amdhsa_named_barrier_count 0
		.amdhsa_reserve_vcc 1
		.amdhsa_float_round_mode_32 0
		.amdhsa_float_round_mode_16_64 0
		.amdhsa_float_denorm_mode_32 3
		.amdhsa_float_denorm_mode_16_64 3
		.amdhsa_fp16_overflow 0
		.amdhsa_memory_ordered 1
		.amdhsa_forward_progress 1
		.amdhsa_inst_pref_size 12
		.amdhsa_round_robin_scheduling 0
		.amdhsa_exception_fp_ieee_invalid_op 0
		.amdhsa_exception_fp_denorm_src 0
		.amdhsa_exception_fp_ieee_div_zero 0
		.amdhsa_exception_fp_ieee_overflow 0
		.amdhsa_exception_fp_ieee_underflow 0
		.amdhsa_exception_fp_ieee_inexact 0
		.amdhsa_exception_int_div_zero 0
	.end_amdhsa_kernel
	.section	.text._ZN2at6native12_GLOBAL__N_138multilabel_margin_loss_backward_kernelIddEEvPT_PKS3_S6_PKlS6_iibb,"axG",@progbits,_ZN2at6native12_GLOBAL__N_138multilabel_margin_loss_backward_kernelIddEEvPT_PKS3_S6_PKlS6_iibb,comdat
.Lfunc_end4:
	.size	_ZN2at6native12_GLOBAL__N_138multilabel_margin_loss_backward_kernelIddEEvPT_PKS3_S6_PKlS6_iibb, .Lfunc_end4-_ZN2at6native12_GLOBAL__N_138multilabel_margin_loss_backward_kernelIddEEvPT_PKS3_S6_PKlS6_iibb
                                        ; -- End function
	.set _ZN2at6native12_GLOBAL__N_138multilabel_margin_loss_backward_kernelIddEEvPT_PKS3_S6_PKlS6_iibb.num_vgpr, 20
	.set _ZN2at6native12_GLOBAL__N_138multilabel_margin_loss_backward_kernelIddEEvPT_PKS3_S6_PKlS6_iibb.num_agpr, 0
	.set _ZN2at6native12_GLOBAL__N_138multilabel_margin_loss_backward_kernelIddEEvPT_PKS3_S6_PKlS6_iibb.numbered_sgpr, 29
	.set _ZN2at6native12_GLOBAL__N_138multilabel_margin_loss_backward_kernelIddEEvPT_PKS3_S6_PKlS6_iibb.num_named_barrier, 0
	.set _ZN2at6native12_GLOBAL__N_138multilabel_margin_loss_backward_kernelIddEEvPT_PKS3_S6_PKlS6_iibb.private_seg_size, 0
	.set _ZN2at6native12_GLOBAL__N_138multilabel_margin_loss_backward_kernelIddEEvPT_PKS3_S6_PKlS6_iibb.uses_vcc, 1
	.set _ZN2at6native12_GLOBAL__N_138multilabel_margin_loss_backward_kernelIddEEvPT_PKS3_S6_PKlS6_iibb.uses_flat_scratch, 0
	.set _ZN2at6native12_GLOBAL__N_138multilabel_margin_loss_backward_kernelIddEEvPT_PKS3_S6_PKlS6_iibb.has_dyn_sized_stack, 0
	.set _ZN2at6native12_GLOBAL__N_138multilabel_margin_loss_backward_kernelIddEEvPT_PKS3_S6_PKlS6_iibb.has_recursion, 0
	.set _ZN2at6native12_GLOBAL__N_138multilabel_margin_loss_backward_kernelIddEEvPT_PKS3_S6_PKlS6_iibb.has_indirect_call, 0
	.section	.AMDGPU.csdata,"",@progbits
; Kernel info:
; codeLenInByte = 1492
; TotalNumSgprs: 31
; NumVgprs: 20
; ScratchSize: 0
; MemoryBound: 0
; FloatMode: 240
; IeeeMode: 1
; LDSByteSize: 1024 bytes/workgroup (compile time only)
; SGPRBlocks: 0
; VGPRBlocks: 1
; NumSGPRsForWavesPerEU: 31
; NumVGPRsForWavesPerEU: 20
; NamedBarCnt: 0
; Occupancy: 16
; WaveLimiterHint : 1
; COMPUTE_PGM_RSRC2:SCRATCH_EN: 0
; COMPUTE_PGM_RSRC2:USER_SGPR: 2
; COMPUTE_PGM_RSRC2:TRAP_HANDLER: 0
; COMPUTE_PGM_RSRC2:TGID_X_EN: 1
; COMPUTE_PGM_RSRC2:TGID_Y_EN: 0
; COMPUTE_PGM_RSRC2:TGID_Z_EN: 0
; COMPUTE_PGM_RSRC2:TIDIG_COMP_CNT: 0
	.section	.text._ZN2at6native12_GLOBAL__N_138multilabel_margin_loss_backward_kernelIffEEvPT_PKS3_S6_PKlS6_iibb,"axG",@progbits,_ZN2at6native12_GLOBAL__N_138multilabel_margin_loss_backward_kernelIffEEvPT_PKS3_S6_PKlS6_iibb,comdat
	.globl	_ZN2at6native12_GLOBAL__N_138multilabel_margin_loss_backward_kernelIffEEvPT_PKS3_S6_PKlS6_iibb ; -- Begin function _ZN2at6native12_GLOBAL__N_138multilabel_margin_loss_backward_kernelIffEEvPT_PKS3_S6_PKlS6_iibb
	.p2align	8
	.type	_ZN2at6native12_GLOBAL__N_138multilabel_margin_loss_backward_kernelIffEEvPT_PKS3_S6_PKlS6_iibb,@function
_ZN2at6native12_GLOBAL__N_138multilabel_margin_loss_backward_kernelIffEEvPT_PKS3_S6_PKlS6_iibb: ; @_ZN2at6native12_GLOBAL__N_138multilabel_margin_loss_backward_kernelIffEEvPT_PKS3_S6_PKlS6_iibb
; %bb.0:
	s_clause 0x2
	s_load_b96 s[12:14], s[0:1], 0x28
	s_load_b256 s[4:11], s[0:1], 0x0
	s_load_b64 s[18:19], s[0:1], 0x20
	s_bfe_u32 s2, ttmp6, 0x4000c
	s_and_b32 s3, ttmp6, 15
	s_add_co_i32 s2, s2, 1
	s_getreg_b32 s15, hwreg(HW_REG_IB_STS2, 6, 4)
	s_mul_i32 s2, ttmp9, s2
	s_delay_alu instid0(SALU_CYCLE_1)
	s_add_co_i32 s3, s3, s2
	s_cmp_eq_u32 s15, 0
	s_cselect_b32 s24, ttmp9, s3
	s_mov_b32 s3, 0
	s_wait_kmcnt 0x0
	s_mul_i32 s22, s13, s24
	v_cmp_gt_i32_e64 s2, s13, v0
	s_ashr_i32 s23, s22, 31
	s_delay_alu instid0(SALU_CYCLE_1) | instskip(NEXT) | instid1(SALU_CYCLE_1)
	s_lshl_b64 s[20:21], s[22:23], 2
	s_add_nc_u64 s[16:17], s[4:5], s[20:21]
	s_and_saveexec_b32 s4, s2
	s_cbranch_execz .LBB5_3
; %bb.1:
	s_load_b32 s5, s[0:1], 0x44
	v_dual_mov_b32 v1, 0 :: v_dual_mov_b32 v2, v0
	s_wait_kmcnt 0x0
	s_and_b32 s5, s5, 0xffff
.LBB5_2:                                ; =>This Inner Loop Header: Depth=1
	global_store_b32 v2, v1, s[16:17] scale_offset
	s_wait_xcnt 0x0
	v_add_nc_u32_e32 v2, s5, v2
	s_delay_alu instid0(VALU_DEP_1) | instskip(SKIP_1) | instid1(SALU_CYCLE_1)
	v_cmp_le_i32_e32 vcc_lo, s13, v2
	s_or_b32 s3, vcc_lo, s3
	s_and_not1_b32 exec_lo, exec_lo, s3
	s_cbranch_execnz .LBB5_2
.LBB5_3:
	s_or_b32 exec_lo, exec_lo, s4
	s_load_b32 s3, s[0:1], 0x30
	s_wait_storecnt 0x0
	s_barrier_signal -1
	s_barrier_wait -1
	s_wait_kmcnt 0x0
	s_bitcmp1_b32 s3, 8
	s_cselect_b32 s25, -1, 0
	s_cmp_lt_i32 s13, 1
	s_cbranch_scc1 .LBB5_24
; %bb.4:
	s_bitcmp1_b32 s14, 0
	v_mbcnt_lo_u32_b32 v6, -1, 0
	s_cselect_b32 s3, -1, 0
	s_lshl_b64 s[14:15], s[22:23], 3
	s_and_b32 s3, s3, s25
	v_cmp_eq_u32_e64 s4, 0, v0
	s_and_b32 s3, s3, exec_lo
	s_cselect_b32 s3, s12, 1
	v_lshl_or_b32 v9, v6, 2, 64
	s_mul_i32 s3, s3, s13
	s_add_nc_u64 s[8:9], s[8:9], s[20:21]
	s_cvt_f32_i32 s12, s3
	v_cmp_gt_u32_e64 s3, 32, v0
	s_add_nc_u64 s[10:11], s[10:11], s[14:15]
	s_add_nc_u64 s[14:15], s[18:19], s[20:21]
	v_div_scale_f32 v1, null, s12, s12, 1.0
	v_div_scale_f32 v4, vcc_lo, 1.0, s12, 1.0
	s_add_nc_u64 s[18:19], s[0:1], 56
	v_rcp_f32_e32 v2, v1
	v_xor_b32_e32 v3, 0x80000000, v1
	v_and_b32_e32 v7, 31, v0
	s_delay_alu instid0(TRANS32_DEP_1) | instid1(VALU_DEP_2)
	v_fma_f32 v1, v3, v2, 1.0
	s_delay_alu instid0(VALU_DEP_2) | instskip(NEXT) | instid1(VALU_DEP_2)
	v_cmp_eq_u32_e64 s5, 0, v7
	v_dual_fmac_f32 v2, v1, v2 :: v_dual_lshlrev_b32 v7, 2, v7
	s_delay_alu instid0(VALU_DEP_1) | instskip(NEXT) | instid1(VALU_DEP_1)
	v_mul_f32_e32 v5, v4, v2
	v_fma_f32 v1, v3, v5, v4
	s_delay_alu instid0(VALU_DEP_1) | instskip(NEXT) | instid1(VALU_DEP_1)
	v_dual_fmac_f32 v5, v1, v2 :: v_dual_lshrrev_b32 v1, 3, v0
	v_dual_fmac_f32 v4, v3, v5 :: v_dual_mov_b32 v3, 0
	s_delay_alu instid0(VALU_DEP_1) | instskip(NEXT) | instid1(VALU_DEP_1)
	v_div_fmas_f32 v2, v4, v2, v5
	v_div_fixup_f32 v8, v2, s12, 1.0
	s_mov_b32 s12, 0
	s_branch .LBB5_7
.LBB5_5:                                ;   in Loop: Header=BB5_7 Depth=1
	s_wait_xcnt 0x0
	s_or_b32 exec_lo, exec_lo, s22
	s_add_co_i32 s12, s12, 1
	s_delay_alu instid0(SALU_CYCLE_1)
	s_cmp_eq_u32 s12, s13
	s_cselect_b32 s22, -1, 0
.LBB5_6:                                ;   in Loop: Header=BB5_7 Depth=1
	s_delay_alu instid0(SALU_CYCLE_1)
	s_and_b32 vcc_lo, exec_lo, s22
	s_cbranch_vccnz .LBB5_24
.LBB5_7:                                ; =>This Loop Header: Depth=1
                                        ;     Child Loop BB5_12 Depth 2
	v_mov_b32_e32 v2, s12
	s_mov_b32 s22, -1
	global_load_b64 v[4:5], v2, s[10:11] scale_offset
	s_wait_loadcnt 0x0
	s_wait_xcnt 0x0
	v_and_b32_e32 v2, 0x80000000, v4
	v_readfirstlane_b32 s20, v4
	v_readfirstlane_b32 s21, v5
	s_delay_alu instid0(VALU_DEP_3)
	v_cmp_ne_u64_e32 vcc_lo, 0, v[2:3]
	s_cbranch_vccnz .LBB5_6
; %bb.8:                                ;   in Loop: Header=BB5_7 Depth=1
	v_mov_b32_e32 v2, 0
	s_and_b64 s[20:21], s[20:21], 0x7fffffff
	s_and_saveexec_b32 s22, s2
	s_cbranch_execz .LBB5_16
; %bb.9:                                ;   in Loop: Header=BB5_7 Depth=1
	s_lshl_b64 s[26:27], s[20:21], 2
	s_load_b32 s23, s[18:19], 0xc
	s_add_nc_u64 s[26:27], s[8:9], s[26:27]
	global_load_b32 v4, v3, s[26:27]
	v_mov_b32_e32 v2, 0
	s_wait_kmcnt 0x0
	s_wait_xcnt 0x0
	s_and_b32 s26, s23, 0xffff
	s_mov_b32 s23, 0
	s_wait_loadcnt 0x0
	v_dual_sub_f32 v10, 1.0, v4 :: v_dual_mov_b32 v4, v0
	s_branch .LBB5_12
.LBB5_10:                               ;   in Loop: Header=BB5_12 Depth=2
	s_wait_xcnt 0x0
	s_or_b32 exec_lo, exec_lo, s28
.LBB5_11:                               ;   in Loop: Header=BB5_12 Depth=2
	s_delay_alu instid0(SALU_CYCLE_1) | instskip(SKIP_1) | instid1(VALU_DEP_1)
	s_or_b32 exec_lo, exec_lo, s27
	v_add_nc_u32_e32 v4, s26, v4
	v_cmp_le_i32_e32 vcc_lo, s13, v4
	s_or_b32 s23, vcc_lo, s23
	s_delay_alu instid0(SALU_CYCLE_1)
	s_and_not1_b32 exec_lo, exec_lo, s23
	s_cbranch_execz .LBB5_15
.LBB5_12:                               ;   Parent Loop BB5_7 Depth=1
                                        ; =>  This Inner Loop Header: Depth=2
	global_load_b32 v5, v4, s[14:15] scale_offset
	s_mov_b32 s27, exec_lo
	s_wait_loadcnt_dscnt 0x0
	v_cvt_i32_f32_e32 v11, v5
	v_ashrrev_i32_e32 v5, 31, v4
	s_wait_xcnt 0x0
	s_delay_alu instid0(VALU_DEP_2)
	v_cmpx_eq_u32_e32 0, v11
	s_cbranch_execz .LBB5_11
; %bb.13:                               ;   in Loop: Header=BB5_12 Depth=2
	s_delay_alu instid0(VALU_DEP_2)
	v_lshl_add_u64 v[12:13], v[4:5], 2, s[8:9]
	s_mov_b32 s28, exec_lo
	global_load_b32 v11, v[12:13], off
	s_wait_loadcnt 0x0
	v_add_f32_e32 v11, v10, v11
	s_wait_xcnt 0x0
	s_delay_alu instid0(VALU_DEP_1)
	v_cmpx_lt_f32_e32 0, v11
	s_cbranch_execz .LBB5_10
; %bb.14:                               ;   in Loop: Header=BB5_12 Depth=2
	v_lshl_add_u64 v[12:13], v[4:5], 2, s[16:17]
	v_sub_f32_e32 v2, v2, v8
	global_load_b32 v5, v[12:13], off
	s_wait_loadcnt 0x0
	v_add_f32_e32 v5, v8, v5
	global_store_b32 v[12:13], v5, off
	s_branch .LBB5_10
.LBB5_15:                               ;   in Loop: Header=BB5_7 Depth=1
	s_or_b32 exec_lo, exec_lo, s23
.LBB5_16:                               ;   in Loop: Header=BB5_7 Depth=1
	s_delay_alu instid0(SALU_CYCLE_1)
	s_or_b32 exec_lo, exec_lo, s22
	ds_bpermute_b32 v5, v9, v2
	v_cmp_gt_u32_e32 vcc_lo, 24, v6
	s_wait_storecnt_dscnt 0x0
	s_barrier_signal -1
	s_barrier_wait -1
	v_cndmask_b32_e64 v4, 0, 8, vcc_lo
	v_cmp_gt_u32_e32 vcc_lo, 28, v6
	s_barrier_signal -1
	s_barrier_wait -1
	s_delay_alu instid0(VALU_DEP_2)
	v_add_lshl_u32 v4, v4, v6, 2
	v_add_f32_e32 v5, v2, v5
	v_cndmask_b32_e64 v2, 0, 4, vcc_lo
	v_cmp_gt_u32_e32 vcc_lo, 30, v6
	ds_bpermute_b32 v10, v4, v5
	v_add_lshl_u32 v2, v2, v6, 2
	s_wait_dscnt 0x0
	v_add_f32_e32 v10, v5, v10
	v_cndmask_b32_e64 v5, 0, 2, vcc_lo
	v_cmp_ne_u32_e32 vcc_lo, 31, v6
	ds_bpermute_b32 v11, v2, v10
	v_add_lshl_u32 v5, v5, v6, 2
	v_add_co_ci_u32_e64 v12, null, 0, v6, vcc_lo
	s_wait_dscnt 0x0
	v_add_f32_e32 v10, v10, v11
	ds_bpermute_b32 v11, v5, v10
	s_wait_dscnt 0x0
	v_dual_add_f32 v11, v10, v11 :: v_dual_lshlrev_b32 v10, 2, v12
	ds_bpermute_b32 v12, v10, v11
	s_and_saveexec_b32 s22, s5
	s_cbranch_execz .LBB5_18
; %bb.17:                               ;   in Loop: Header=BB5_7 Depth=1
	s_wait_dscnt 0x0
	v_add_f32_e32 v11, v11, v12
	ds_store_b32 v1, v11
.LBB5_18:                               ;   in Loop: Header=BB5_7 Depth=1
	s_or_b32 exec_lo, exec_lo, s22
	s_wait_dscnt 0x0
	s_barrier_signal -1
	s_barrier_wait -1
	s_load_b32 s22, s[18:19], 0xc
	v_mov_b32_e32 v11, 0
	s_wait_kmcnt 0x0
	s_bfe_u32 s22, s22, 0xb0005
	s_delay_alu instid0(SALU_CYCLE_1)
	v_cmp_gt_u32_e32 vcc_lo, s22, v0
	s_and_saveexec_b32 s22, vcc_lo
	s_cbranch_execnz .LBB5_21
; %bb.19:                               ;   in Loop: Header=BB5_7 Depth=1
	s_or_b32 exec_lo, exec_lo, s22
	s_and_saveexec_b32 s22, s3
	s_cbranch_execnz .LBB5_22
.LBB5_20:                               ;   in Loop: Header=BB5_7 Depth=1
	s_or_b32 exec_lo, exec_lo, s22
	s_and_saveexec_b32 s22, s4
	s_cbranch_execz .LBB5_5
	s_branch .LBB5_23
.LBB5_21:                               ;   in Loop: Header=BB5_7 Depth=1
	ds_load_b32 v11, v7
	s_or_b32 exec_lo, exec_lo, s22
	s_and_saveexec_b32 s22, s3
	s_cbranch_execz .LBB5_20
.LBB5_22:                               ;   in Loop: Header=BB5_7 Depth=1
	s_wait_dscnt 0x0
	ds_bpermute_b32 v12, v9, v11
	s_wait_dscnt 0x0
	v_add_f32_e32 v11, v11, v12
	ds_bpermute_b32 v4, v4, v11
	s_wait_dscnt 0x0
	v_add_f32_e32 v4, v11, v4
	ds_bpermute_b32 v2, v2, v4
	s_wait_dscnt 0x0
	v_add_f32_e32 v2, v4, v2
	ds_bpermute_b32 v4, v5, v2
	s_wait_dscnt 0x0
	v_add_f32_e32 v2, v2, v4
	ds_bpermute_b32 v4, v10, v2
	s_wait_dscnt 0x0
	v_add_f32_e32 v11, v2, v4
	s_or_b32 exec_lo, exec_lo, s22
	s_and_saveexec_b32 s22, s4
	s_cbranch_execz .LBB5_5
.LBB5_23:                               ;   in Loop: Header=BB5_7 Depth=1
	s_lshl_b64 s[20:21], s[20:21], 2
	s_delay_alu instid0(SALU_CYCLE_1)
	s_add_nc_u64 s[20:21], s[16:17], s[20:21]
	global_load_b32 v2, v3, s[20:21]
	s_wait_loadcnt_dscnt 0x0
	v_add_f32_e32 v2, v11, v2
	global_store_b32 v3, v2, s[20:21]
	s_branch .LBB5_5
.LBB5_24:
	s_and_saveexec_b32 s3, s2
	s_cbranch_execz .LBB5_27
; %bb.25:
	s_load_b32 s3, s[0:1], 0x44
	s_wait_xcnt 0x0
	s_ashr_i32 s0, s24, 31
	s_and_b32 s1, s25, exec_lo
	s_cselect_b32 s1, 0, s0
	s_cselect_b32 s0, 0, s24
	v_mov_b32_e32 v1, 0
	s_lshl_b64 s[0:1], s[0:1], 2
	s_mov_b32 s2, 0
	s_add_nc_u64 s[0:1], s[6:7], s[0:1]
	s_wait_kmcnt 0x0
	s_and_b32 s3, s3, 0xffff
.LBB5_26:                               ; =>This Inner Loop Header: Depth=1
	global_load_b32 v2, v1, s[0:1]
	global_load_b32 v3, v0, s[16:17] scale_offset
	s_wait_loadcnt 0x0
	v_mul_f32_e32 v2, v2, v3
	global_store_b32 v0, v2, s[16:17] scale_offset
	s_wait_xcnt 0x0
	v_add_nc_u32_e32 v0, s3, v0
	s_delay_alu instid0(VALU_DEP_1) | instskip(SKIP_1) | instid1(SALU_CYCLE_1)
	v_cmp_le_i32_e32 vcc_lo, s13, v0
	s_or_b32 s2, vcc_lo, s2
	s_and_not1_b32 exec_lo, exec_lo, s2
	s_cbranch_execnz .LBB5_26
.LBB5_27:
	s_endpgm
	.section	.rodata,"a",@progbits
	.p2align	6, 0x0
	.amdhsa_kernel _ZN2at6native12_GLOBAL__N_138multilabel_margin_loss_backward_kernelIffEEvPT_PKS3_S6_PKlS6_iibb
		.amdhsa_group_segment_fixed_size 512
		.amdhsa_private_segment_fixed_size 0
		.amdhsa_kernarg_size 312
		.amdhsa_user_sgpr_count 2
		.amdhsa_user_sgpr_dispatch_ptr 0
		.amdhsa_user_sgpr_queue_ptr 0
		.amdhsa_user_sgpr_kernarg_segment_ptr 1
		.amdhsa_user_sgpr_dispatch_id 0
		.amdhsa_user_sgpr_kernarg_preload_length 0
		.amdhsa_user_sgpr_kernarg_preload_offset 0
		.amdhsa_user_sgpr_private_segment_size 0
		.amdhsa_wavefront_size32 1
		.amdhsa_uses_dynamic_stack 0
		.amdhsa_enable_private_segment 0
		.amdhsa_system_sgpr_workgroup_id_x 1
		.amdhsa_system_sgpr_workgroup_id_y 0
		.amdhsa_system_sgpr_workgroup_id_z 0
		.amdhsa_system_sgpr_workgroup_info 0
		.amdhsa_system_vgpr_workitem_id 0
		.amdhsa_next_free_vgpr 14
		.amdhsa_next_free_sgpr 29
		.amdhsa_named_barrier_count 0
		.amdhsa_reserve_vcc 1
		.amdhsa_float_round_mode_32 0
		.amdhsa_float_round_mode_16_64 0
		.amdhsa_float_denorm_mode_32 3
		.amdhsa_float_denorm_mode_16_64 3
		.amdhsa_fp16_overflow 0
		.amdhsa_memory_ordered 1
		.amdhsa_forward_progress 1
		.amdhsa_inst_pref_size 11
		.amdhsa_round_robin_scheduling 0
		.amdhsa_exception_fp_ieee_invalid_op 0
		.amdhsa_exception_fp_denorm_src 0
		.amdhsa_exception_fp_ieee_div_zero 0
		.amdhsa_exception_fp_ieee_overflow 0
		.amdhsa_exception_fp_ieee_underflow 0
		.amdhsa_exception_fp_ieee_inexact 0
		.amdhsa_exception_int_div_zero 0
	.end_amdhsa_kernel
	.section	.text._ZN2at6native12_GLOBAL__N_138multilabel_margin_loss_backward_kernelIffEEvPT_PKS3_S6_PKlS6_iibb,"axG",@progbits,_ZN2at6native12_GLOBAL__N_138multilabel_margin_loss_backward_kernelIffEEvPT_PKS3_S6_PKlS6_iibb,comdat
.Lfunc_end5:
	.size	_ZN2at6native12_GLOBAL__N_138multilabel_margin_loss_backward_kernelIffEEvPT_PKS3_S6_PKlS6_iibb, .Lfunc_end5-_ZN2at6native12_GLOBAL__N_138multilabel_margin_loss_backward_kernelIffEEvPT_PKS3_S6_PKlS6_iibb
                                        ; -- End function
	.set _ZN2at6native12_GLOBAL__N_138multilabel_margin_loss_backward_kernelIffEEvPT_PKS3_S6_PKlS6_iibb.num_vgpr, 14
	.set _ZN2at6native12_GLOBAL__N_138multilabel_margin_loss_backward_kernelIffEEvPT_PKS3_S6_PKlS6_iibb.num_agpr, 0
	.set _ZN2at6native12_GLOBAL__N_138multilabel_margin_loss_backward_kernelIffEEvPT_PKS3_S6_PKlS6_iibb.numbered_sgpr, 29
	.set _ZN2at6native12_GLOBAL__N_138multilabel_margin_loss_backward_kernelIffEEvPT_PKS3_S6_PKlS6_iibb.num_named_barrier, 0
	.set _ZN2at6native12_GLOBAL__N_138multilabel_margin_loss_backward_kernelIffEEvPT_PKS3_S6_PKlS6_iibb.private_seg_size, 0
	.set _ZN2at6native12_GLOBAL__N_138multilabel_margin_loss_backward_kernelIffEEvPT_PKS3_S6_PKlS6_iibb.uses_vcc, 1
	.set _ZN2at6native12_GLOBAL__N_138multilabel_margin_loss_backward_kernelIffEEvPT_PKS3_S6_PKlS6_iibb.uses_flat_scratch, 0
	.set _ZN2at6native12_GLOBAL__N_138multilabel_margin_loss_backward_kernelIffEEvPT_PKS3_S6_PKlS6_iibb.has_dyn_sized_stack, 0
	.set _ZN2at6native12_GLOBAL__N_138multilabel_margin_loss_backward_kernelIffEEvPT_PKS3_S6_PKlS6_iibb.has_recursion, 0
	.set _ZN2at6native12_GLOBAL__N_138multilabel_margin_loss_backward_kernelIffEEvPT_PKS3_S6_PKlS6_iibb.has_indirect_call, 0
	.section	.AMDGPU.csdata,"",@progbits
; Kernel info:
; codeLenInByte = 1396
; TotalNumSgprs: 31
; NumVgprs: 14
; ScratchSize: 0
; MemoryBound: 0
; FloatMode: 240
; IeeeMode: 1
; LDSByteSize: 512 bytes/workgroup (compile time only)
; SGPRBlocks: 0
; VGPRBlocks: 0
; NumSGPRsForWavesPerEU: 31
; NumVGPRsForWavesPerEU: 14
; NamedBarCnt: 0
; Occupancy: 16
; WaveLimiterHint : 1
; COMPUTE_PGM_RSRC2:SCRATCH_EN: 0
; COMPUTE_PGM_RSRC2:USER_SGPR: 2
; COMPUTE_PGM_RSRC2:TRAP_HANDLER: 0
; COMPUTE_PGM_RSRC2:TGID_X_EN: 1
; COMPUTE_PGM_RSRC2:TGID_Y_EN: 0
; COMPUTE_PGM_RSRC2:TGID_Z_EN: 0
; COMPUTE_PGM_RSRC2:TIDIG_COMP_CNT: 0
	.section	.text._ZN2at6native12_GLOBAL__N_138multilabel_margin_loss_backward_kernelIN3c104HalfEfEEvPT_PKS5_S8_PKlS8_iibb,"axG",@progbits,_ZN2at6native12_GLOBAL__N_138multilabel_margin_loss_backward_kernelIN3c104HalfEfEEvPT_PKS5_S8_PKlS8_iibb,comdat
	.globl	_ZN2at6native12_GLOBAL__N_138multilabel_margin_loss_backward_kernelIN3c104HalfEfEEvPT_PKS5_S8_PKlS8_iibb ; -- Begin function _ZN2at6native12_GLOBAL__N_138multilabel_margin_loss_backward_kernelIN3c104HalfEfEEvPT_PKS5_S8_PKlS8_iibb
	.p2align	8
	.type	_ZN2at6native12_GLOBAL__N_138multilabel_margin_loss_backward_kernelIN3c104HalfEfEEvPT_PKS5_S8_PKlS8_iibb,@function
_ZN2at6native12_GLOBAL__N_138multilabel_margin_loss_backward_kernelIN3c104HalfEfEEvPT_PKS5_S8_PKlS8_iibb: ; @_ZN2at6native12_GLOBAL__N_138multilabel_margin_loss_backward_kernelIN3c104HalfEfEEvPT_PKS5_S8_PKlS8_iibb
; %bb.0:
	s_clause 0x2
	s_load_b96 s[12:14], s[0:1], 0x28
	s_load_b256 s[4:11], s[0:1], 0x0
	s_load_b64 s[18:19], s[0:1], 0x20
	s_bfe_u32 s2, ttmp6, 0x4000c
	s_and_b32 s3, ttmp6, 15
	s_add_co_i32 s2, s2, 1
	s_getreg_b32 s15, hwreg(HW_REG_IB_STS2, 6, 4)
	s_mul_i32 s2, ttmp9, s2
	s_delay_alu instid0(SALU_CYCLE_1)
	s_add_co_i32 s3, s3, s2
	s_cmp_eq_u32 s15, 0
	s_cselect_b32 s24, ttmp9, s3
	s_mov_b32 s3, 0
	s_wait_kmcnt 0x0
	s_mul_i32 s22, s13, s24
	v_cmp_gt_i32_e64 s2, s13, v0
	s_ashr_i32 s23, s22, 31
	s_delay_alu instid0(SALU_CYCLE_1) | instskip(NEXT) | instid1(SALU_CYCLE_1)
	s_lshl_b64 s[20:21], s[22:23], 1
	s_add_nc_u64 s[16:17], s[4:5], s[20:21]
	s_and_saveexec_b32 s4, s2
	s_cbranch_execz .LBB6_3
; %bb.1:
	s_load_b32 s5, s[0:1], 0x44
	v_dual_mov_b32 v1, 0 :: v_dual_mov_b32 v2, v0
	s_wait_kmcnt 0x0
	s_and_b32 s5, s5, 0xffff
.LBB6_2:                                ; =>This Inner Loop Header: Depth=1
	global_store_b16 v2, v1, s[16:17] scale_offset
	s_wait_xcnt 0x0
	v_add_nc_u32_e32 v2, s5, v2
	s_delay_alu instid0(VALU_DEP_1) | instskip(SKIP_1) | instid1(SALU_CYCLE_1)
	v_cmp_le_i32_e32 vcc_lo, s13, v2
	s_or_b32 s3, vcc_lo, s3
	s_and_not1_b32 exec_lo, exec_lo, s3
	s_cbranch_execnz .LBB6_2
.LBB6_3:
	s_or_b32 exec_lo, exec_lo, s4
	s_load_b32 s3, s[0:1], 0x30
	s_wait_storecnt 0x0
	s_barrier_signal -1
	s_barrier_wait -1
	s_wait_kmcnt 0x0
	s_bitcmp1_b32 s3, 8
	s_cselect_b32 s25, -1, 0
	s_cmp_lt_i32 s13, 1
	s_cbranch_scc1 .LBB6_24
; %bb.4:
	s_bitcmp1_b32 s14, 0
	v_mbcnt_lo_u32_b32 v6, -1, 0
	s_cselect_b32 s3, -1, 0
	s_lshl_b64 s[14:15], s[22:23], 3
	s_and_b32 s3, s3, s25
	v_cmp_eq_u32_e64 s4, 0, v0
	s_and_b32 s3, s3, exec_lo
	s_cselect_b32 s3, s12, 1
	v_lshl_or_b32 v9, v6, 2, 64
	s_mul_i32 s3, s3, s13
	s_add_nc_u64 s[8:9], s[8:9], s[20:21]
	s_cvt_f32_i32 s3, s3
	s_add_nc_u64 s[10:11], s[10:11], s[14:15]
	s_add_nc_u64 s[14:15], s[18:19], s[20:21]
	;; [unrolled: 1-line block ×3, first 2 shown]
	v_div_scale_f32 v1, null, s3, s3, 1.0
	v_div_scale_f32 v4, vcc_lo, 1.0, s3, 1.0
	s_mov_b32 s12, 0
	v_rcp_f32_e32 v2, v1
	v_nop
	v_xor_b32_e32 v1, 0x80000000, v1
	s_delay_alu instid0(TRANS32_DEP_1) | instid1(VALU_DEP_1)
	v_fma_f32 v3, v1, v2, 1.0
	s_delay_alu instid0(VALU_DEP_1) | instskip(NEXT) | instid1(VALU_DEP_1)
	v_fmac_f32_e32 v2, v3, v2
	v_mul_f32_e32 v3, v4, v2
	s_delay_alu instid0(VALU_DEP_1) | instskip(NEXT) | instid1(VALU_DEP_1)
	v_fma_f32 v5, v1, v3, v4
	v_fmac_f32_e32 v3, v5, v2
	s_delay_alu instid0(VALU_DEP_1) | instskip(NEXT) | instid1(VALU_DEP_1)
	v_fmac_f32_e32 v4, v1, v3
	v_div_fmas_f32 v1, v4, v2, v3
	v_and_b32_e32 v2, 31, v0
	s_delay_alu instid0(VALU_DEP_2) | instskip(SKIP_2) | instid1(VALU_DEP_4)
	v_div_fixup_f32 v3, v1, s3, 1.0
	v_lshrrev_b32_e32 v1, 3, v0
	v_cmp_gt_u32_e64 s3, 32, v0
	v_cmp_eq_u32_e64 s5, 0, v2
	v_lshlrev_b32_e32 v8, 2, v2
	v_cvt_f16_f32_e32 v7, v3
	v_mov_b32_e32 v3, 0
	s_delay_alu instid0(VALU_DEP_2)
	v_cvt_f32_f16_e32 v10, v7
	s_branch .LBB6_7
.LBB6_5:                                ;   in Loop: Header=BB6_7 Depth=1
	s_wait_xcnt 0x0
	s_or_b32 exec_lo, exec_lo, s20
	s_add_co_i32 s12, s12, 1
	s_delay_alu instid0(SALU_CYCLE_1)
	s_cmp_eq_u32 s12, s13
	s_cselect_b32 s20, -1, 0
.LBB6_6:                                ;   in Loop: Header=BB6_7 Depth=1
	s_delay_alu instid0(SALU_CYCLE_1)
	s_and_b32 vcc_lo, exec_lo, s20
	s_cbranch_vccnz .LBB6_24
.LBB6_7:                                ; =>This Loop Header: Depth=1
                                        ;     Child Loop BB6_12 Depth 2
	v_mov_b32_e32 v2, s12
	s_mov_b32 s20, -1
	global_load_b64 v[4:5], v2, s[10:11] scale_offset
	s_wait_loadcnt 0x0
	s_wait_xcnt 0x0
	v_and_b32_e32 v2, 0x80000000, v4
	s_delay_alu instid0(VALU_DEP_1)
	v_cmp_ne_u64_e32 vcc_lo, 0, v[2:3]
	s_cbranch_vccnz .LBB6_6
; %bb.8:                                ;   in Loop: Header=BB6_7 Depth=1
	v_and_b32_e32 v2, 0x7fffffff, v4
	v_mov_b32_e32 v11, 0
	s_and_saveexec_b32 s20, s2
	s_cbranch_execz .LBB6_16
; %bb.9:                                ;   in Loop: Header=BB6_7 Depth=1
	global_load_u16 v4, v2, s[8:9] scale_offset
	s_load_b32 s21, s[18:19], 0xc
	v_mov_b32_e32 v11, 0
	s_wait_kmcnt 0x0
	s_and_b32 s22, s21, 0xffff
	s_mov_b32 s21, 0
	s_wait_loadcnt 0x0
	v_sub_f16_e32 v12, 1.0, v4
	v_mov_b32_e32 v4, v0
	s_branch .LBB6_12
.LBB6_10:                               ;   in Loop: Header=BB6_12 Depth=2
	s_wait_xcnt 0x0
	s_or_b32 exec_lo, exec_lo, s26
.LBB6_11:                               ;   in Loop: Header=BB6_12 Depth=2
	s_delay_alu instid0(SALU_CYCLE_1) | instskip(SKIP_1) | instid1(VALU_DEP_1)
	s_or_b32 exec_lo, exec_lo, s23
	v_add_nc_u32_e32 v4, s22, v4
	v_cmp_le_i32_e32 vcc_lo, s13, v4
	s_or_b32 s21, vcc_lo, s21
	s_delay_alu instid0(SALU_CYCLE_1)
	s_and_not1_b32 exec_lo, exec_lo, s21
	s_cbranch_execz .LBB6_15
.LBB6_12:                               ;   Parent Loop BB6_7 Depth=1
                                        ; =>  This Inner Loop Header: Depth=2
	global_load_u16 v5, v4, s[14:15] scale_offset
	s_mov_b32 s23, exec_lo
	s_wait_loadcnt 0x0
	v_cvt_f32_f16_e32 v5, v5
	s_wait_dscnt 0x0
	s_delay_alu instid0(VALU_DEP_1) | instskip(SKIP_2) | instid1(VALU_DEP_2)
	v_cvt_i32_f32_e32 v13, v5
	v_ashrrev_i32_e32 v5, 31, v4
	s_wait_xcnt 0x0
	v_cmpx_eq_u32_e32 0, v13
	s_cbranch_execz .LBB6_11
; %bb.13:                               ;   in Loop: Header=BB6_12 Depth=2
	s_delay_alu instid0(VALU_DEP_2)
	v_lshl_add_u64 v[14:15], v[4:5], 1, s[8:9]
	s_mov_b32 s26, exec_lo
	global_load_u16 v13, v[14:15], off
	s_wait_loadcnt 0x0
	v_add_f16_e32 v13, v12, v13
	s_wait_xcnt 0x0
	s_delay_alu instid0(VALU_DEP_1)
	v_cmpx_lt_f16_e32 0, v13
	s_cbranch_execz .LBB6_10
; %bb.14:                               ;   in Loop: Header=BB6_12 Depth=2
	v_lshl_add_u64 v[14:15], v[4:5], 1, s[16:17]
	v_sub_f32_e32 v11, v11, v10
	global_load_u16 v5, v[14:15], off
	s_wait_loadcnt 0x0
	v_add_f16_e32 v5, v5, v7
	global_store_b16 v[14:15], v5, off
	s_branch .LBB6_10
.LBB6_15:                               ;   in Loop: Header=BB6_7 Depth=1
	s_or_b32 exec_lo, exec_lo, s21
.LBB6_16:                               ;   in Loop: Header=BB6_7 Depth=1
	s_delay_alu instid0(SALU_CYCLE_1)
	s_or_b32 exec_lo, exec_lo, s20
	ds_bpermute_b32 v5, v9, v11
	v_cmp_gt_u32_e32 vcc_lo, 24, v6
	s_wait_storecnt_dscnt 0x0
	s_barrier_signal -1
	s_barrier_wait -1
	v_cndmask_b32_e64 v4, 0, 8, vcc_lo
	v_cmp_gt_u32_e32 vcc_lo, 28, v6
	s_barrier_signal -1
	s_barrier_wait -1
	s_delay_alu instid0(VALU_DEP_2)
	v_add_lshl_u32 v4, v4, v6, 2
	v_add_f32_e32 v11, v11, v5
	v_cndmask_b32_e64 v5, 0, 4, vcc_lo
	v_cmp_gt_u32_e32 vcc_lo, 30, v6
	ds_bpermute_b32 v12, v4, v11
	v_add_lshl_u32 v5, v5, v6, 2
	s_wait_dscnt 0x0
	v_add_f32_e32 v12, v11, v12
	v_cndmask_b32_e64 v11, 0, 2, vcc_lo
	v_cmp_ne_u32_e32 vcc_lo, 31, v6
	ds_bpermute_b32 v13, v5, v12
	v_add_lshl_u32 v11, v11, v6, 2
	v_add_co_ci_u32_e64 v14, null, 0, v6, vcc_lo
	s_wait_dscnt 0x0
	v_add_f32_e32 v12, v12, v13
	ds_bpermute_b32 v13, v11, v12
	s_wait_dscnt 0x0
	v_dual_add_f32 v13, v12, v13 :: v_dual_lshlrev_b32 v12, 2, v14
	ds_bpermute_b32 v14, v12, v13
	s_and_saveexec_b32 s20, s5
	s_cbranch_execz .LBB6_18
; %bb.17:                               ;   in Loop: Header=BB6_7 Depth=1
	s_wait_dscnt 0x0
	v_add_f32_e32 v13, v13, v14
	ds_store_b32 v1, v13
.LBB6_18:                               ;   in Loop: Header=BB6_7 Depth=1
	s_or_b32 exec_lo, exec_lo, s20
	s_wait_dscnt 0x0
	s_barrier_signal -1
	s_barrier_wait -1
	s_load_b32 s20, s[18:19], 0xc
	v_mov_b32_e32 v13, 0
	s_wait_kmcnt 0x0
	s_bfe_u32 s20, s20, 0xb0005
	s_delay_alu instid0(SALU_CYCLE_1)
	v_cmp_gt_u32_e32 vcc_lo, s20, v0
	s_and_saveexec_b32 s20, vcc_lo
	s_cbranch_execnz .LBB6_21
; %bb.19:                               ;   in Loop: Header=BB6_7 Depth=1
	s_or_b32 exec_lo, exec_lo, s20
	s_and_saveexec_b32 s20, s3
	s_cbranch_execnz .LBB6_22
.LBB6_20:                               ;   in Loop: Header=BB6_7 Depth=1
	s_or_b32 exec_lo, exec_lo, s20
	s_and_saveexec_b32 s20, s4
	s_cbranch_execz .LBB6_5
	s_branch .LBB6_23
.LBB6_21:                               ;   in Loop: Header=BB6_7 Depth=1
	ds_load_b32 v13, v8
	s_or_b32 exec_lo, exec_lo, s20
	s_and_saveexec_b32 s20, s3
	s_cbranch_execz .LBB6_20
.LBB6_22:                               ;   in Loop: Header=BB6_7 Depth=1
	s_wait_dscnt 0x0
	ds_bpermute_b32 v14, v9, v13
	s_wait_dscnt 0x0
	v_add_f32_e32 v13, v13, v14
	ds_bpermute_b32 v4, v4, v13
	s_wait_dscnt 0x0
	v_add_f32_e32 v4, v13, v4
	;; [unrolled: 3-line block ×5, first 2 shown]
	s_or_b32 exec_lo, exec_lo, s20
	s_and_saveexec_b32 s20, s4
	s_cbranch_execz .LBB6_5
.LBB6_23:                               ;   in Loop: Header=BB6_7 Depth=1
	global_load_u16 v4, v2, s[16:17] scale_offset
	s_wait_dscnt 0x0
	v_cvt_f16_f32_e32 v5, v13
	s_wait_loadcnt 0x0
	s_delay_alu instid0(VALU_DEP_1)
	v_add_f16_e32 v4, v4, v5
	global_store_b16 v2, v4, s[16:17] scale_offset
	s_branch .LBB6_5
.LBB6_24:
	s_and_saveexec_b32 s3, s2
	s_cbranch_execz .LBB6_27
; %bb.25:
	s_load_b32 s3, s[0:1], 0x44
	s_wait_xcnt 0x0
	s_ashr_i32 s0, s24, 31
	s_and_b32 s1, s25, exec_lo
	s_cselect_b32 s1, 0, s0
	s_cselect_b32 s0, 0, s24
	v_mov_b32_e32 v1, 0
	s_lshl_b64 s[0:1], s[0:1], 1
	s_mov_b32 s2, 0
	s_add_nc_u64 s[0:1], s[6:7], s[0:1]
	s_wait_kmcnt 0x0
	s_and_b32 s3, s3, 0xffff
.LBB6_26:                               ; =>This Inner Loop Header: Depth=1
	global_load_u16 v2, v1, s[0:1]
	global_load_u16 v3, v0, s[16:17] scale_offset
	s_wait_loadcnt 0x0
	v_mul_f16_e32 v2, v2, v3
	global_store_b16 v0, v2, s[16:17] scale_offset
	s_wait_xcnt 0x0
	v_add_nc_u32_e32 v0, s3, v0
	s_delay_alu instid0(VALU_DEP_1) | instskip(SKIP_1) | instid1(SALU_CYCLE_1)
	v_cmp_le_i32_e32 vcc_lo, s13, v0
	s_or_b32 s2, vcc_lo, s2
	s_and_not1_b32 exec_lo, exec_lo, s2
	s_cbranch_execnz .LBB6_26
.LBB6_27:
	s_endpgm
	.section	.rodata,"a",@progbits
	.p2align	6, 0x0
	.amdhsa_kernel _ZN2at6native12_GLOBAL__N_138multilabel_margin_loss_backward_kernelIN3c104HalfEfEEvPT_PKS5_S8_PKlS8_iibb
		.amdhsa_group_segment_fixed_size 512
		.amdhsa_private_segment_fixed_size 0
		.amdhsa_kernarg_size 312
		.amdhsa_user_sgpr_count 2
		.amdhsa_user_sgpr_dispatch_ptr 0
		.amdhsa_user_sgpr_queue_ptr 0
		.amdhsa_user_sgpr_kernarg_segment_ptr 1
		.amdhsa_user_sgpr_dispatch_id 0
		.amdhsa_user_sgpr_kernarg_preload_length 0
		.amdhsa_user_sgpr_kernarg_preload_offset 0
		.amdhsa_user_sgpr_private_segment_size 0
		.amdhsa_wavefront_size32 1
		.amdhsa_uses_dynamic_stack 0
		.amdhsa_enable_private_segment 0
		.amdhsa_system_sgpr_workgroup_id_x 1
		.amdhsa_system_sgpr_workgroup_id_y 0
		.amdhsa_system_sgpr_workgroup_id_z 0
		.amdhsa_system_sgpr_workgroup_info 0
		.amdhsa_system_vgpr_workitem_id 0
		.amdhsa_next_free_vgpr 16
		.amdhsa_next_free_sgpr 27
		.amdhsa_named_barrier_count 0
		.amdhsa_reserve_vcc 1
		.amdhsa_float_round_mode_32 0
		.amdhsa_float_round_mode_16_64 0
		.amdhsa_float_denorm_mode_32 3
		.amdhsa_float_denorm_mode_16_64 3
		.amdhsa_fp16_overflow 0
		.amdhsa_memory_ordered 1
		.amdhsa_forward_progress 1
		.amdhsa_inst_pref_size 11
		.amdhsa_round_robin_scheduling 0
		.amdhsa_exception_fp_ieee_invalid_op 0
		.amdhsa_exception_fp_denorm_src 0
		.amdhsa_exception_fp_ieee_div_zero 0
		.amdhsa_exception_fp_ieee_overflow 0
		.amdhsa_exception_fp_ieee_underflow 0
		.amdhsa_exception_fp_ieee_inexact 0
		.amdhsa_exception_int_div_zero 0
	.end_amdhsa_kernel
	.section	.text._ZN2at6native12_GLOBAL__N_138multilabel_margin_loss_backward_kernelIN3c104HalfEfEEvPT_PKS5_S8_PKlS8_iibb,"axG",@progbits,_ZN2at6native12_GLOBAL__N_138multilabel_margin_loss_backward_kernelIN3c104HalfEfEEvPT_PKS5_S8_PKlS8_iibb,comdat
.Lfunc_end6:
	.size	_ZN2at6native12_GLOBAL__N_138multilabel_margin_loss_backward_kernelIN3c104HalfEfEEvPT_PKS5_S8_PKlS8_iibb, .Lfunc_end6-_ZN2at6native12_GLOBAL__N_138multilabel_margin_loss_backward_kernelIN3c104HalfEfEEvPT_PKS5_S8_PKlS8_iibb
                                        ; -- End function
	.set _ZN2at6native12_GLOBAL__N_138multilabel_margin_loss_backward_kernelIN3c104HalfEfEEvPT_PKS5_S8_PKlS8_iibb.num_vgpr, 16
	.set _ZN2at6native12_GLOBAL__N_138multilabel_margin_loss_backward_kernelIN3c104HalfEfEEvPT_PKS5_S8_PKlS8_iibb.num_agpr, 0
	.set _ZN2at6native12_GLOBAL__N_138multilabel_margin_loss_backward_kernelIN3c104HalfEfEEvPT_PKS5_S8_PKlS8_iibb.numbered_sgpr, 27
	.set _ZN2at6native12_GLOBAL__N_138multilabel_margin_loss_backward_kernelIN3c104HalfEfEEvPT_PKS5_S8_PKlS8_iibb.num_named_barrier, 0
	.set _ZN2at6native12_GLOBAL__N_138multilabel_margin_loss_backward_kernelIN3c104HalfEfEEvPT_PKS5_S8_PKlS8_iibb.private_seg_size, 0
	.set _ZN2at6native12_GLOBAL__N_138multilabel_margin_loss_backward_kernelIN3c104HalfEfEEvPT_PKS5_S8_PKlS8_iibb.uses_vcc, 1
	.set _ZN2at6native12_GLOBAL__N_138multilabel_margin_loss_backward_kernelIN3c104HalfEfEEvPT_PKS5_S8_PKlS8_iibb.uses_flat_scratch, 0
	.set _ZN2at6native12_GLOBAL__N_138multilabel_margin_loss_backward_kernelIN3c104HalfEfEEvPT_PKS5_S8_PKlS8_iibb.has_dyn_sized_stack, 0
	.set _ZN2at6native12_GLOBAL__N_138multilabel_margin_loss_backward_kernelIN3c104HalfEfEEvPT_PKS5_S8_PKlS8_iibb.has_recursion, 0
	.set _ZN2at6native12_GLOBAL__N_138multilabel_margin_loss_backward_kernelIN3c104HalfEfEEvPT_PKS5_S8_PKlS8_iibb.has_indirect_call, 0
	.section	.AMDGPU.csdata,"",@progbits
; Kernel info:
; codeLenInByte = 1392
; TotalNumSgprs: 29
; NumVgprs: 16
; ScratchSize: 0
; MemoryBound: 0
; FloatMode: 240
; IeeeMode: 1
; LDSByteSize: 512 bytes/workgroup (compile time only)
; SGPRBlocks: 0
; VGPRBlocks: 0
; NumSGPRsForWavesPerEU: 29
; NumVGPRsForWavesPerEU: 16
; NamedBarCnt: 0
; Occupancy: 16
; WaveLimiterHint : 1
; COMPUTE_PGM_RSRC2:SCRATCH_EN: 0
; COMPUTE_PGM_RSRC2:USER_SGPR: 2
; COMPUTE_PGM_RSRC2:TRAP_HANDLER: 0
; COMPUTE_PGM_RSRC2:TGID_X_EN: 1
; COMPUTE_PGM_RSRC2:TGID_Y_EN: 0
; COMPUTE_PGM_RSRC2:TGID_Z_EN: 0
; COMPUTE_PGM_RSRC2:TIDIG_COMP_CNT: 0
	.section	.text._ZN2at6native12_GLOBAL__N_138multilabel_margin_loss_backward_kernelIN3c108BFloat16EfEEvPT_PKS5_S8_PKlS8_iibb,"axG",@progbits,_ZN2at6native12_GLOBAL__N_138multilabel_margin_loss_backward_kernelIN3c108BFloat16EfEEvPT_PKS5_S8_PKlS8_iibb,comdat
	.globl	_ZN2at6native12_GLOBAL__N_138multilabel_margin_loss_backward_kernelIN3c108BFloat16EfEEvPT_PKS5_S8_PKlS8_iibb ; -- Begin function _ZN2at6native12_GLOBAL__N_138multilabel_margin_loss_backward_kernelIN3c108BFloat16EfEEvPT_PKS5_S8_PKlS8_iibb
	.p2align	8
	.type	_ZN2at6native12_GLOBAL__N_138multilabel_margin_loss_backward_kernelIN3c108BFloat16EfEEvPT_PKS5_S8_PKlS8_iibb,@function
_ZN2at6native12_GLOBAL__N_138multilabel_margin_loss_backward_kernelIN3c108BFloat16EfEEvPT_PKS5_S8_PKlS8_iibb: ; @_ZN2at6native12_GLOBAL__N_138multilabel_margin_loss_backward_kernelIN3c108BFloat16EfEEvPT_PKS5_S8_PKlS8_iibb
; %bb.0:
	s_clause 0x2
	s_load_b96 s[16:18], s[0:1], 0x28
	s_load_b256 s[8:15], s[0:1], 0x0
	s_load_b64 s[6:7], s[0:1], 0x20
	s_bfe_u32 s2, ttmp6, 0x4000c
	s_and_b32 s3, ttmp6, 15
	s_add_co_i32 s2, s2, 1
	s_getreg_b32 s4, hwreg(HW_REG_IB_STS2, 6, 4)
	s_mul_i32 s2, ttmp9, s2
	s_delay_alu instid0(SALU_CYCLE_1)
	s_add_co_i32 s3, s3, s2
	s_cmp_eq_u32 s4, 0
	s_cselect_b32 s22, ttmp9, s3
	s_mov_b32 s3, 0
	s_wait_kmcnt 0x0
	s_mul_i32 s4, s17, s22
	v_cmp_gt_i32_e64 s2, s17, v0
	s_ashr_i32 s5, s4, 31
	s_delay_alu instid0(SALU_CYCLE_1) | instskip(NEXT) | instid1(SALU_CYCLE_1)
	s_lshl_b64 s[20:21], s[4:5], 1
	s_add_nc_u64 s[8:9], s[8:9], s[20:21]
	s_and_saveexec_b32 s19, s2
	s_cbranch_execz .LBB7_3
; %bb.1:
	s_load_b32 s23, s[0:1], 0x44
	v_dual_mov_b32 v1, 0 :: v_dual_mov_b32 v2, v0
	s_wait_kmcnt 0x0
	s_and_b32 s23, s23, 0xffff
.LBB7_2:                                ; =>This Inner Loop Header: Depth=1
	global_store_b16 v2, v1, s[8:9] scale_offset
	s_wait_xcnt 0x0
	v_add_nc_u32_e32 v2, s23, v2
	s_delay_alu instid0(VALU_DEP_1) | instskip(SKIP_1) | instid1(SALU_CYCLE_1)
	v_cmp_le_i32_e32 vcc_lo, s17, v2
	s_or_b32 s3, vcc_lo, s3
	s_and_not1_b32 exec_lo, exec_lo, s3
	s_cbranch_execnz .LBB7_2
.LBB7_3:
	s_or_b32 exec_lo, exec_lo, s19
	s_load_b32 s3, s[0:1], 0x30
	s_wait_storecnt 0x0
	s_barrier_signal -1
	s_barrier_wait -1
	s_wait_kmcnt 0x0
	s_bitcmp1_b32 s3, 8
	s_cselect_b32 s23, -1, 0
	s_cmp_lt_i32 s17, 1
	s_cbranch_scc1 .LBB7_24
; %bb.4:
	s_bitcmp1_b32 s18, 0
	v_mbcnt_lo_u32_b32 v6, -1, 0
	s_cselect_b32 s3, -1, 0
	s_lshl_b64 s[18:19], s[4:5], 3
	s_and_b32 s3, s3, s23
	v_cmp_eq_u32_e64 s4, 0, v0
	s_and_b32 s3, s3, exec_lo
	s_cselect_b32 s3, s16, 1
	v_lshl_or_b32 v8, v6, 2, 64
	s_mul_i32 s3, s3, s17
	s_add_nc_u64 s[12:13], s[12:13], s[20:21]
	s_cvt_f32_i32 s3, s3
	s_add_nc_u64 s[14:15], s[14:15], s[18:19]
	s_add_nc_u64 s[18:19], s[6:7], s[20:21]
	;; [unrolled: 1-line block ×3, first 2 shown]
	v_div_scale_f32 v1, null, s3, s3, 1.0
	v_div_scale_f32 v4, vcc_lo, 1.0, s3, 1.0
	s_mov_b32 s7, 0
	v_rcp_f32_e32 v2, v1
	v_nop
	v_xor_b32_e32 v1, 0x80000000, v1
	s_delay_alu instid0(TRANS32_DEP_1) | instid1(VALU_DEP_1)
	v_fma_f32 v3, v1, v2, 1.0
	s_delay_alu instid0(VALU_DEP_1) | instskip(NEXT) | instid1(VALU_DEP_1)
	v_fmac_f32_e32 v2, v3, v2
	v_mul_f32_e32 v3, v4, v2
	s_delay_alu instid0(VALU_DEP_1) | instskip(NEXT) | instid1(VALU_DEP_1)
	v_fma_f32 v5, v1, v3, v4
	v_fmac_f32_e32 v3, v5, v2
	s_delay_alu instid0(VALU_DEP_1) | instskip(NEXT) | instid1(VALU_DEP_1)
	v_fmac_f32_e32 v4, v1, v3
	v_div_fmas_f32 v1, v4, v2, v3
	v_and_b32_e32 v3, 31, v0
	s_delay_alu instid0(VALU_DEP_2) | instskip(SKIP_1) | instid1(VALU_DEP_3)
	v_div_fixup_f32 v1, v1, s3, 1.0
	v_cmp_gt_u32_e64 s3, 32, v0
	v_cmp_eq_u32_e64 s5, 0, v3
	v_dual_lshlrev_b32 v7, 2, v3 :: v_dual_mov_b32 v3, 0
	s_delay_alu instid0(VALU_DEP_4) | instskip(NEXT) | instid1(VALU_DEP_1)
	v_bfe_u32 v2, v1, 16, 1
	v_dual_add_nc_u32 v2, v1, v2 :: v_dual_lshrrev_b32 v1, 3, v0
	s_delay_alu instid0(VALU_DEP_1) | instskip(NEXT) | instid1(VALU_DEP_1)
	v_add_nc_u32_e32 v2, 0x7fff, v2
	v_and_b32_e32 v9, 0xffff0000, v2
	s_branch .LBB7_7
.LBB7_5:                                ;   in Loop: Header=BB7_7 Depth=1
	s_wait_xcnt 0x0
	s_or_b32 exec_lo, exec_lo, s6
	s_add_co_i32 s7, s7, 1
	s_delay_alu instid0(SALU_CYCLE_1)
	s_cmp_eq_u32 s7, s17
	s_cselect_b32 s6, -1, 0
.LBB7_6:                                ;   in Loop: Header=BB7_7 Depth=1
	s_delay_alu instid0(SALU_CYCLE_1)
	s_and_b32 vcc_lo, exec_lo, s6
	s_cbranch_vccnz .LBB7_24
.LBB7_7:                                ; =>This Loop Header: Depth=1
                                        ;     Child Loop BB7_12 Depth 2
	v_mov_b32_e32 v2, s7
	s_mov_b32 s6, -1
	global_load_b64 v[4:5], v2, s[14:15] scale_offset
	s_wait_loadcnt 0x0
	s_wait_xcnt 0x0
	v_and_b32_e32 v2, 0x80000000, v4
	s_delay_alu instid0(VALU_DEP_1)
	v_cmp_ne_u64_e32 vcc_lo, 0, v[2:3]
	s_cbranch_vccnz .LBB7_6
; %bb.8:                                ;   in Loop: Header=BB7_7 Depth=1
	v_and_b32_e32 v2, 0x7fffffff, v4
	v_mov_b32_e32 v10, 0
	s_and_saveexec_b32 s16, s2
	s_cbranch_execz .LBB7_16
; %bb.9:                                ;   in Loop: Header=BB7_7 Depth=1
	global_load_u16 v4, v2, s[12:13] scale_offset
	s_load_b32 s25, s[20:21], 0xc
	v_mov_b32_e32 v10, 0
	s_wait_loadcnt 0x0
	v_readfirstlane_b32 s6, v4
	v_mov_b32_e32 v4, v0
	s_lshl_b32 s6, s6, 16
	s_delay_alu instid0(SALU_CYCLE_1) | instskip(NEXT) | instid1(SALU_CYCLE_3)
	s_sub_f32 s6, 1.0, s6
	s_bfe_u32 s24, s6, 0x10010
	s_delay_alu instid0(SALU_CYCLE_1) | instskip(NEXT) | instid1(SALU_CYCLE_1)
	s_add_co_i32 s24, s6, s24
	s_addk_co_i32 s24, 0x7fff
	s_delay_alu instid0(SALU_CYCLE_1)
	s_and_b32 s24, s24, 0xffff0000
	s_cmp_o_f32 s6, s6
	s_cselect_b32 s24, s24, 0x7fc00000
	s_wait_kmcnt 0x0
	s_and_b32 s26, s25, 0xffff
	s_mov_b32 s25, 0
	s_branch .LBB7_12
.LBB7_10:                               ;   in Loop: Header=BB7_12 Depth=2
	s_wait_xcnt 0x0
	s_or_b32 exec_lo, exec_lo, s6
.LBB7_11:                               ;   in Loop: Header=BB7_12 Depth=2
	s_delay_alu instid0(SALU_CYCLE_1) | instskip(SKIP_1) | instid1(VALU_DEP_1)
	s_or_b32 exec_lo, exec_lo, s27
	v_add_nc_u32_e32 v4, s26, v4
	v_cmp_le_i32_e32 vcc_lo, s17, v4
	s_or_b32 s25, vcc_lo, s25
	s_delay_alu instid0(SALU_CYCLE_1)
	s_and_not1_b32 exec_lo, exec_lo, s25
	s_cbranch_execz .LBB7_15
.LBB7_12:                               ;   Parent Loop BB7_7 Depth=1
                                        ; =>  This Inner Loop Header: Depth=2
	global_load_u16 v5, v4, s[18:19] scale_offset
	s_mov_b32 s27, exec_lo
	s_wait_loadcnt 0x0
	v_lshlrev_b32_e32 v5, 16, v5
	s_delay_alu instid0(VALU_DEP_1) | instskip(SKIP_2) | instid1(VALU_DEP_2)
	v_cvt_i32_f32_e32 v11, v5
	v_ashrrev_i32_e32 v5, 31, v4
	s_wait_xcnt 0x0
	v_cmpx_eq_u32_e32 0, v11
	s_cbranch_execz .LBB7_11
; %bb.13:                               ;   in Loop: Header=BB7_12 Depth=2
	s_wait_dscnt 0x0
	v_lshl_add_u64 v[12:13], v[4:5], 1, s[12:13]
	global_load_u16 v11, v[12:13], off
	s_wait_loadcnt 0x0
	v_lshlrev_b32_e32 v11, 16, v11
	s_delay_alu instid0(VALU_DEP_1) | instskip(SKIP_1) | instid1(VALU_DEP_1)
	v_add_f32_e32 v11, s24, v11
	s_wait_xcnt 0x0
	v_bfe_u32 v12, v11, 16, 1
	v_cmp_o_f32_e32 vcc_lo, v11, v11
	s_delay_alu instid0(VALU_DEP_2) | instskip(NEXT) | instid1(VALU_DEP_1)
	v_add3_u32 v12, v11, v12, 0x7fff
	v_and_b32_e32 v12, 0xffff0000, v12
	s_delay_alu instid0(VALU_DEP_1) | instskip(SKIP_1) | instid1(SALU_CYCLE_1)
	v_cmp_lt_f32_e64 s6, 0, v12
	s_and_b32 s28, vcc_lo, s6
	s_and_saveexec_b32 s6, s28
	s_cbranch_execz .LBB7_10
; %bb.14:                               ;   in Loop: Header=BB7_12 Depth=2
	v_lshl_add_u64 v[12:13], v[4:5], 1, s[8:9]
	v_sub_f32_e32 v10, v10, v9
	global_load_u16 v5, v[12:13], off
	s_wait_loadcnt 0x0
	v_lshlrev_b32_e32 v5, 16, v5
	s_delay_alu instid0(VALU_DEP_1) | instskip(NEXT) | instid1(VALU_DEP_1)
	v_add_f32_e32 v5, v9, v5
	v_bfe_u32 v11, v5, 16, 1
	v_cmp_o_f32_e32 vcc_lo, v5, v5
	s_delay_alu instid0(VALU_DEP_2) | instskip(NEXT) | instid1(VALU_DEP_1)
	v_add3_u32 v11, v5, v11, 0x7fff
	v_lshrrev_b32_e32 v11, 16, v11
	s_delay_alu instid0(VALU_DEP_1)
	v_cndmask_b32_e32 v5, 0x7fc0, v11, vcc_lo
	global_store_b16 v[12:13], v5, off
	s_branch .LBB7_10
.LBB7_15:                               ;   in Loop: Header=BB7_7 Depth=1
	s_or_b32 exec_lo, exec_lo, s25
.LBB7_16:                               ;   in Loop: Header=BB7_7 Depth=1
	s_delay_alu instid0(SALU_CYCLE_1)
	s_or_b32 exec_lo, exec_lo, s16
	ds_bpermute_b32 v5, v8, v10
	v_cmp_gt_u32_e32 vcc_lo, 24, v6
	s_wait_storecnt_dscnt 0x0
	s_barrier_signal -1
	s_barrier_wait -1
	v_cndmask_b32_e64 v4, 0, 8, vcc_lo
	v_cmp_gt_u32_e32 vcc_lo, 28, v6
	s_barrier_signal -1
	s_barrier_wait -1
	s_delay_alu instid0(VALU_DEP_2)
	v_add_lshl_u32 v4, v4, v6, 2
	v_add_f32_e32 v10, v10, v5
	v_cndmask_b32_e64 v5, 0, 4, vcc_lo
	v_cmp_gt_u32_e32 vcc_lo, 30, v6
	ds_bpermute_b32 v11, v4, v10
	v_add_lshl_u32 v5, v5, v6, 2
	s_wait_dscnt 0x0
	v_add_f32_e32 v11, v10, v11
	v_cndmask_b32_e64 v10, 0, 2, vcc_lo
	v_cmp_ne_u32_e32 vcc_lo, 31, v6
	ds_bpermute_b32 v12, v5, v11
	v_add_lshl_u32 v10, v10, v6, 2
	v_add_co_ci_u32_e64 v13, null, 0, v6, vcc_lo
	s_wait_dscnt 0x0
	v_add_f32_e32 v11, v11, v12
	ds_bpermute_b32 v12, v10, v11
	s_wait_dscnt 0x0
	v_dual_add_f32 v12, v11, v12 :: v_dual_lshlrev_b32 v11, 2, v13
	ds_bpermute_b32 v13, v11, v12
	s_and_saveexec_b32 s6, s5
	s_cbranch_execz .LBB7_18
; %bb.17:                               ;   in Loop: Header=BB7_7 Depth=1
	s_wait_dscnt 0x0
	v_add_f32_e32 v12, v12, v13
	ds_store_b32 v1, v12
.LBB7_18:                               ;   in Loop: Header=BB7_7 Depth=1
	s_or_b32 exec_lo, exec_lo, s6
	s_wait_dscnt 0x0
	s_barrier_signal -1
	s_barrier_wait -1
	s_load_b32 s6, s[20:21], 0xc
	v_mov_b32_e32 v12, 0
	s_wait_kmcnt 0x0
	s_bfe_u32 s6, s6, 0xb0005
	s_delay_alu instid0(SALU_CYCLE_1)
	v_cmp_gt_u32_e32 vcc_lo, s6, v0
	s_and_saveexec_b32 s6, vcc_lo
	s_cbranch_execnz .LBB7_21
; %bb.19:                               ;   in Loop: Header=BB7_7 Depth=1
	s_or_b32 exec_lo, exec_lo, s6
	s_and_saveexec_b32 s6, s3
	s_cbranch_execnz .LBB7_22
.LBB7_20:                               ;   in Loop: Header=BB7_7 Depth=1
	s_or_b32 exec_lo, exec_lo, s6
	s_and_saveexec_b32 s6, s4
	s_cbranch_execz .LBB7_5
	s_branch .LBB7_23
.LBB7_21:                               ;   in Loop: Header=BB7_7 Depth=1
	ds_load_b32 v12, v7
	s_or_b32 exec_lo, exec_lo, s6
	s_and_saveexec_b32 s6, s3
	s_cbranch_execz .LBB7_20
.LBB7_22:                               ;   in Loop: Header=BB7_7 Depth=1
	s_wait_dscnt 0x0
	ds_bpermute_b32 v13, v8, v12
	s_wait_dscnt 0x0
	v_add_f32_e32 v12, v12, v13
	ds_bpermute_b32 v4, v4, v12
	s_wait_dscnt 0x0
	v_add_f32_e32 v4, v12, v4
	;; [unrolled: 3-line block ×5, first 2 shown]
	s_or_b32 exec_lo, exec_lo, s6
	s_and_saveexec_b32 s6, s4
	s_cbranch_execz .LBB7_5
.LBB7_23:                               ;   in Loop: Header=BB7_7 Depth=1
	global_load_u16 v4, v2, s[8:9] scale_offset
	s_wait_dscnt 0x0
	v_bfe_u32 v5, v12, 16, 1
	v_cmp_o_f32_e32 vcc_lo, v12, v12
	s_delay_alu instid0(VALU_DEP_2) | instskip(NEXT) | instid1(VALU_DEP_1)
	v_add3_u32 v5, v12, v5, 0x7fff
	v_and_b32_e32 v5, 0xffff0000, v5
	s_wait_loadcnt 0x0
	s_delay_alu instid0(VALU_DEP_1) | instskip(NEXT) | instid1(VALU_DEP_1)
	v_dual_cndmask_b32 v5, 0x7fc00000, v5 :: v_dual_lshlrev_b32 v4, 16, v4
	v_add_f32_e32 v4, v5, v4
	s_delay_alu instid0(VALU_DEP_1) | instskip(NEXT) | instid1(VALU_DEP_1)
	v_bfe_u32 v5, v4, 16, 1
	v_add3_u32 v5, v4, v5, 0x7fff
	s_delay_alu instid0(VALU_DEP_1) | instskip(SKIP_1) | instid1(VALU_DEP_2)
	v_lshrrev_b32_e32 v5, 16, v5
	v_cmp_o_f32_e32 vcc_lo, v4, v4
	v_cndmask_b32_e32 v4, 0x7fc0, v5, vcc_lo
	global_store_b16 v2, v4, s[8:9] scale_offset
	s_branch .LBB7_5
.LBB7_24:
	s_and_saveexec_b32 s3, s2
	s_cbranch_execz .LBB7_27
; %bb.25:
	s_load_b32 s3, s[0:1], 0x44
	s_wait_xcnt 0x0
	s_ashr_i32 s0, s22, 31
	s_and_b32 s1, s23, exec_lo
	s_cselect_b32 s1, 0, s0
	s_cselect_b32 s0, 0, s22
	v_mov_b32_e32 v1, 0
	s_lshl_b64 s[0:1], s[0:1], 1
	s_mov_b32 s2, 0
	s_add_nc_u64 s[0:1], s[10:11], s[0:1]
	s_wait_kmcnt 0x0
	s_and_b32 s3, s3, 0xffff
.LBB7_26:                               ; =>This Inner Loop Header: Depth=1
	global_load_u16 v2, v1, s[0:1]
	global_load_u16 v3, v0, s[8:9] scale_offset
	s_wait_loadcnt 0x0
	v_dual_lshlrev_b32 v2, 16, v2 :: v_dual_lshlrev_b32 v3, 16, v3
	s_delay_alu instid0(VALU_DEP_1) | instskip(NEXT) | instid1(VALU_DEP_1)
	v_mul_f32_e32 v2, v3, v2
	v_bfe_u32 v3, v2, 16, 1
	s_delay_alu instid0(VALU_DEP_1) | instskip(NEXT) | instid1(VALU_DEP_1)
	v_add3_u32 v3, v2, v3, 0x7fff
	v_lshrrev_b32_e32 v3, 16, v3
	v_cmp_o_f32_e32 vcc_lo, v2, v2
	s_delay_alu instid0(VALU_DEP_2) | instskip(SKIP_3) | instid1(VALU_DEP_1)
	v_cndmask_b32_e32 v2, 0x7fc0, v3, vcc_lo
	global_store_b16 v0, v2, s[8:9] scale_offset
	s_wait_xcnt 0x0
	v_add_nc_u32_e32 v0, s3, v0
	v_cmp_le_i32_e32 vcc_lo, s17, v0
	s_or_b32 s2, vcc_lo, s2
	s_delay_alu instid0(SALU_CYCLE_1)
	s_and_not1_b32 exec_lo, exec_lo, s2
	s_cbranch_execnz .LBB7_26
.LBB7_27:
	s_endpgm
	.section	.rodata,"a",@progbits
	.p2align	6, 0x0
	.amdhsa_kernel _ZN2at6native12_GLOBAL__N_138multilabel_margin_loss_backward_kernelIN3c108BFloat16EfEEvPT_PKS5_S8_PKlS8_iibb
		.amdhsa_group_segment_fixed_size 512
		.amdhsa_private_segment_fixed_size 0
		.amdhsa_kernarg_size 312
		.amdhsa_user_sgpr_count 2
		.amdhsa_user_sgpr_dispatch_ptr 0
		.amdhsa_user_sgpr_queue_ptr 0
		.amdhsa_user_sgpr_kernarg_segment_ptr 1
		.amdhsa_user_sgpr_dispatch_id 0
		.amdhsa_user_sgpr_kernarg_preload_length 0
		.amdhsa_user_sgpr_kernarg_preload_offset 0
		.amdhsa_user_sgpr_private_segment_size 0
		.amdhsa_wavefront_size32 1
		.amdhsa_uses_dynamic_stack 0
		.amdhsa_enable_private_segment 0
		.amdhsa_system_sgpr_workgroup_id_x 1
		.amdhsa_system_sgpr_workgroup_id_y 0
		.amdhsa_system_sgpr_workgroup_id_z 0
		.amdhsa_system_sgpr_workgroup_info 0
		.amdhsa_system_vgpr_workitem_id 0
		.amdhsa_next_free_vgpr 14
		.amdhsa_next_free_sgpr 29
		.amdhsa_named_barrier_count 0
		.amdhsa_reserve_vcc 1
		.amdhsa_float_round_mode_32 0
		.amdhsa_float_round_mode_16_64 0
		.amdhsa_float_denorm_mode_32 3
		.amdhsa_float_denorm_mode_16_64 3
		.amdhsa_fp16_overflow 0
		.amdhsa_memory_ordered 1
		.amdhsa_forward_progress 1
		.amdhsa_inst_pref_size 14
		.amdhsa_round_robin_scheduling 0
		.amdhsa_exception_fp_ieee_invalid_op 0
		.amdhsa_exception_fp_denorm_src 0
		.amdhsa_exception_fp_ieee_div_zero 0
		.amdhsa_exception_fp_ieee_overflow 0
		.amdhsa_exception_fp_ieee_underflow 0
		.amdhsa_exception_fp_ieee_inexact 0
		.amdhsa_exception_int_div_zero 0
	.end_amdhsa_kernel
	.section	.text._ZN2at6native12_GLOBAL__N_138multilabel_margin_loss_backward_kernelIN3c108BFloat16EfEEvPT_PKS5_S8_PKlS8_iibb,"axG",@progbits,_ZN2at6native12_GLOBAL__N_138multilabel_margin_loss_backward_kernelIN3c108BFloat16EfEEvPT_PKS5_S8_PKlS8_iibb,comdat
.Lfunc_end7:
	.size	_ZN2at6native12_GLOBAL__N_138multilabel_margin_loss_backward_kernelIN3c108BFloat16EfEEvPT_PKS5_S8_PKlS8_iibb, .Lfunc_end7-_ZN2at6native12_GLOBAL__N_138multilabel_margin_loss_backward_kernelIN3c108BFloat16EfEEvPT_PKS5_S8_PKlS8_iibb
                                        ; -- End function
	.set _ZN2at6native12_GLOBAL__N_138multilabel_margin_loss_backward_kernelIN3c108BFloat16EfEEvPT_PKS5_S8_PKlS8_iibb.num_vgpr, 14
	.set _ZN2at6native12_GLOBAL__N_138multilabel_margin_loss_backward_kernelIN3c108BFloat16EfEEvPT_PKS5_S8_PKlS8_iibb.num_agpr, 0
	.set _ZN2at6native12_GLOBAL__N_138multilabel_margin_loss_backward_kernelIN3c108BFloat16EfEEvPT_PKS5_S8_PKlS8_iibb.numbered_sgpr, 29
	.set _ZN2at6native12_GLOBAL__N_138multilabel_margin_loss_backward_kernelIN3c108BFloat16EfEEvPT_PKS5_S8_PKlS8_iibb.num_named_barrier, 0
	.set _ZN2at6native12_GLOBAL__N_138multilabel_margin_loss_backward_kernelIN3c108BFloat16EfEEvPT_PKS5_S8_PKlS8_iibb.private_seg_size, 0
	.set _ZN2at6native12_GLOBAL__N_138multilabel_margin_loss_backward_kernelIN3c108BFloat16EfEEvPT_PKS5_S8_PKlS8_iibb.uses_vcc, 1
	.set _ZN2at6native12_GLOBAL__N_138multilabel_margin_loss_backward_kernelIN3c108BFloat16EfEEvPT_PKS5_S8_PKlS8_iibb.uses_flat_scratch, 0
	.set _ZN2at6native12_GLOBAL__N_138multilabel_margin_loss_backward_kernelIN3c108BFloat16EfEEvPT_PKS5_S8_PKlS8_iibb.has_dyn_sized_stack, 0
	.set _ZN2at6native12_GLOBAL__N_138multilabel_margin_loss_backward_kernelIN3c108BFloat16EfEEvPT_PKS5_S8_PKlS8_iibb.has_recursion, 0
	.set _ZN2at6native12_GLOBAL__N_138multilabel_margin_loss_backward_kernelIN3c108BFloat16EfEEvPT_PKS5_S8_PKlS8_iibb.has_indirect_call, 0
	.section	.AMDGPU.csdata,"",@progbits
; Kernel info:
; codeLenInByte = 1728
; TotalNumSgprs: 31
; NumVgprs: 14
; ScratchSize: 0
; MemoryBound: 0
; FloatMode: 240
; IeeeMode: 1
; LDSByteSize: 512 bytes/workgroup (compile time only)
; SGPRBlocks: 0
; VGPRBlocks: 0
; NumSGPRsForWavesPerEU: 31
; NumVGPRsForWavesPerEU: 14
; NamedBarCnt: 0
; Occupancy: 16
; WaveLimiterHint : 1
; COMPUTE_PGM_RSRC2:SCRATCH_EN: 0
; COMPUTE_PGM_RSRC2:USER_SGPR: 2
; COMPUTE_PGM_RSRC2:TRAP_HANDLER: 0
; COMPUTE_PGM_RSRC2:TGID_X_EN: 1
; COMPUTE_PGM_RSRC2:TGID_Y_EN: 0
; COMPUTE_PGM_RSRC2:TGID_Z_EN: 0
; COMPUTE_PGM_RSRC2:TIDIG_COMP_CNT: 0
	.section	.AMDGPU.gpr_maximums,"",@progbits
	.set amdgpu.max_num_vgpr, 0
	.set amdgpu.max_num_agpr, 0
	.set amdgpu.max_num_sgpr, 0
	.section	.AMDGPU.csdata,"",@progbits
	.type	__hip_cuid_d8e44cbabc50db1d,@object ; @__hip_cuid_d8e44cbabc50db1d
	.section	.bss,"aw",@nobits
	.globl	__hip_cuid_d8e44cbabc50db1d
__hip_cuid_d8e44cbabc50db1d:
	.byte	0                               ; 0x0
	.size	__hip_cuid_d8e44cbabc50db1d, 1

	.ident	"AMD clang version 22.0.0git (https://github.com/RadeonOpenCompute/llvm-project roc-7.2.4 26084 f58b06dce1f9c15707c5f808fd002e18c2accf7e)"
	.section	".note.GNU-stack","",@progbits
	.addrsig
	.addrsig_sym __hip_cuid_d8e44cbabc50db1d
	.amdgpu_metadata
---
amdhsa.kernels:
  - .args:
      - .address_space:  global
        .offset:         0
        .size:           8
        .value_kind:     global_buffer
      - .address_space:  global
        .offset:         8
        .size:           8
        .value_kind:     global_buffer
      - .address_space:  global
        .offset:         16
        .size:           8
        .value_kind:     global_buffer
      - .address_space:  global
        .offset:         24
        .size:           8
        .value_kind:     global_buffer
      - .offset:         32
        .size:           4
        .value_kind:     by_value
      - .offset:         36
        .size:           4
        .value_kind:     by_value
      - .offset:         40
        .size:           1
        .value_kind:     by_value
      - .offset:         48
        .size:           4
        .value_kind:     hidden_block_count_x
      - .offset:         52
        .size:           4
        .value_kind:     hidden_block_count_y
      - .offset:         56
        .size:           4
        .value_kind:     hidden_block_count_z
      - .offset:         60
        .size:           2
        .value_kind:     hidden_group_size_x
      - .offset:         62
        .size:           2
        .value_kind:     hidden_group_size_y
      - .offset:         64
        .size:           2
        .value_kind:     hidden_group_size_z
      - .offset:         66
        .size:           2
        .value_kind:     hidden_remainder_x
      - .offset:         68
        .size:           2
        .value_kind:     hidden_remainder_y
      - .offset:         70
        .size:           2
        .value_kind:     hidden_remainder_z
      - .offset:         88
        .size:           8
        .value_kind:     hidden_global_offset_x
      - .offset:         96
        .size:           8
        .value_kind:     hidden_global_offset_y
      - .offset:         104
        .size:           8
        .value_kind:     hidden_global_offset_z
      - .offset:         112
        .size:           2
        .value_kind:     hidden_grid_dims
    .group_segment_fixed_size: 1024
    .kernarg_segment_align: 8
    .kernarg_segment_size: 304
    .language:       OpenCL C
    .language_version:
      - 2
      - 0
    .max_flat_workgroup_size: 128
    .name:           _ZN2at6native12_GLOBAL__N_137multilabel_margin_loss_forward_kernelIddEEvPT_PKS3_PKlS4_iib
    .private_segment_fixed_size: 0
    .sgpr_count:     28
    .sgpr_spill_count: 0
    .symbol:         _ZN2at6native12_GLOBAL__N_137multilabel_margin_loss_forward_kernelIddEEvPT_PKS3_PKlS4_iib.kd
    .uniform_work_group_size: 1
    .uses_dynamic_stack: false
    .vgpr_count:     12
    .vgpr_spill_count: 0
    .wavefront_size: 32
  - .args:
      - .address_space:  global
        .offset:         0
        .size:           8
        .value_kind:     global_buffer
      - .address_space:  global
        .offset:         8
        .size:           8
        .value_kind:     global_buffer
      - .address_space:  global
        .offset:         16
        .size:           8
        .value_kind:     global_buffer
      - .address_space:  global
        .offset:         24
        .size:           8
        .value_kind:     global_buffer
      - .offset:         32
        .size:           4
        .value_kind:     by_value
      - .offset:         36
        .size:           4
        .value_kind:     by_value
      - .offset:         40
        .size:           1
        .value_kind:     by_value
      - .offset:         48
        .size:           4
        .value_kind:     hidden_block_count_x
      - .offset:         52
        .size:           4
        .value_kind:     hidden_block_count_y
      - .offset:         56
        .size:           4
        .value_kind:     hidden_block_count_z
      - .offset:         60
        .size:           2
        .value_kind:     hidden_group_size_x
      - .offset:         62
        .size:           2
        .value_kind:     hidden_group_size_y
      - .offset:         64
        .size:           2
        .value_kind:     hidden_group_size_z
      - .offset:         66
        .size:           2
        .value_kind:     hidden_remainder_x
      - .offset:         68
        .size:           2
        .value_kind:     hidden_remainder_y
      - .offset:         70
        .size:           2
        .value_kind:     hidden_remainder_z
      - .offset:         88
        .size:           8
        .value_kind:     hidden_global_offset_x
      - .offset:         96
        .size:           8
        .value_kind:     hidden_global_offset_y
      - .offset:         104
        .size:           8
        .value_kind:     hidden_global_offset_z
      - .offset:         112
        .size:           2
        .value_kind:     hidden_grid_dims
    .group_segment_fixed_size: 512
    .kernarg_segment_align: 8
    .kernarg_segment_size: 304
    .language:       OpenCL C
    .language_version:
      - 2
      - 0
    .max_flat_workgroup_size: 128
    .name:           _ZN2at6native12_GLOBAL__N_137multilabel_margin_loss_forward_kernelIffEEvPT_PKS3_PKlS4_iib
    .private_segment_fixed_size: 0
    .sgpr_count:     28
    .sgpr_spill_count: 0
    .symbol:         _ZN2at6native12_GLOBAL__N_137multilabel_margin_loss_forward_kernelIffEEvPT_PKS3_PKlS4_iib.kd
    .uniform_work_group_size: 1
    .uses_dynamic_stack: false
    .vgpr_count:     9
    .vgpr_spill_count: 0
    .wavefront_size: 32
  - .args:
      - .address_space:  global
        .offset:         0
        .size:           8
        .value_kind:     global_buffer
      - .address_space:  global
        .offset:         8
        .size:           8
        .value_kind:     global_buffer
      - .address_space:  global
        .offset:         16
        .size:           8
        .value_kind:     global_buffer
      - .address_space:  global
        .offset:         24
        .size:           8
        .value_kind:     global_buffer
      - .offset:         32
        .size:           4
        .value_kind:     by_value
      - .offset:         36
        .size:           4
        .value_kind:     by_value
      - .offset:         40
        .size:           1
        .value_kind:     by_value
      - .offset:         48
        .size:           4
        .value_kind:     hidden_block_count_x
      - .offset:         52
        .size:           4
        .value_kind:     hidden_block_count_y
      - .offset:         56
        .size:           4
        .value_kind:     hidden_block_count_z
      - .offset:         60
        .size:           2
        .value_kind:     hidden_group_size_x
      - .offset:         62
        .size:           2
        .value_kind:     hidden_group_size_y
      - .offset:         64
        .size:           2
        .value_kind:     hidden_group_size_z
      - .offset:         66
        .size:           2
        .value_kind:     hidden_remainder_x
      - .offset:         68
        .size:           2
        .value_kind:     hidden_remainder_y
      - .offset:         70
        .size:           2
        .value_kind:     hidden_remainder_z
      - .offset:         88
        .size:           8
        .value_kind:     hidden_global_offset_x
      - .offset:         96
        .size:           8
        .value_kind:     hidden_global_offset_y
      - .offset:         104
        .size:           8
        .value_kind:     hidden_global_offset_z
      - .offset:         112
        .size:           2
        .value_kind:     hidden_grid_dims
    .group_segment_fixed_size: 512
    .kernarg_segment_align: 8
    .kernarg_segment_size: 304
    .language:       OpenCL C
    .language_version:
      - 2
      - 0
    .max_flat_workgroup_size: 128
    .name:           _ZN2at6native12_GLOBAL__N_137multilabel_margin_loss_forward_kernelIN3c104HalfEfEEvPT_PKS5_PKlS6_iib
    .private_segment_fixed_size: 0
    .sgpr_count:     27
    .sgpr_spill_count: 0
    .symbol:         _ZN2at6native12_GLOBAL__N_137multilabel_margin_loss_forward_kernelIN3c104HalfEfEEvPT_PKS5_PKlS6_iib.kd
    .uniform_work_group_size: 1
    .uses_dynamic_stack: false
    .vgpr_count:     9
    .vgpr_spill_count: 0
    .wavefront_size: 32
  - .args:
      - .address_space:  global
        .offset:         0
        .size:           8
        .value_kind:     global_buffer
      - .address_space:  global
        .offset:         8
        .size:           8
        .value_kind:     global_buffer
      - .address_space:  global
        .offset:         16
        .size:           8
        .value_kind:     global_buffer
      - .address_space:  global
        .offset:         24
        .size:           8
        .value_kind:     global_buffer
      - .offset:         32
        .size:           4
        .value_kind:     by_value
      - .offset:         36
        .size:           4
        .value_kind:     by_value
      - .offset:         40
        .size:           1
        .value_kind:     by_value
      - .offset:         48
        .size:           4
        .value_kind:     hidden_block_count_x
      - .offset:         52
        .size:           4
        .value_kind:     hidden_block_count_y
      - .offset:         56
        .size:           4
        .value_kind:     hidden_block_count_z
      - .offset:         60
        .size:           2
        .value_kind:     hidden_group_size_x
      - .offset:         62
        .size:           2
        .value_kind:     hidden_group_size_y
      - .offset:         64
        .size:           2
        .value_kind:     hidden_group_size_z
      - .offset:         66
        .size:           2
        .value_kind:     hidden_remainder_x
      - .offset:         68
        .size:           2
        .value_kind:     hidden_remainder_y
      - .offset:         70
        .size:           2
        .value_kind:     hidden_remainder_z
      - .offset:         88
        .size:           8
        .value_kind:     hidden_global_offset_x
      - .offset:         96
        .size:           8
        .value_kind:     hidden_global_offset_y
      - .offset:         104
        .size:           8
        .value_kind:     hidden_global_offset_z
      - .offset:         112
        .size:           2
        .value_kind:     hidden_grid_dims
    .group_segment_fixed_size: 512
    .kernarg_segment_align: 8
    .kernarg_segment_size: 304
    .language:       OpenCL C
    .language_version:
      - 2
      - 0
    .max_flat_workgroup_size: 128
    .name:           _ZN2at6native12_GLOBAL__N_137multilabel_margin_loss_forward_kernelIN3c108BFloat16EfEEvPT_PKS5_PKlS6_iib
    .private_segment_fixed_size: 0
    .sgpr_count:     27
    .sgpr_spill_count: 0
    .symbol:         _ZN2at6native12_GLOBAL__N_137multilabel_margin_loss_forward_kernelIN3c108BFloat16EfEEvPT_PKS5_PKlS6_iib.kd
    .uniform_work_group_size: 1
    .uses_dynamic_stack: false
    .vgpr_count:     9
    .vgpr_spill_count: 0
    .wavefront_size: 32
  - .args:
      - .address_space:  global
        .offset:         0
        .size:           8
        .value_kind:     global_buffer
      - .address_space:  global
        .offset:         8
        .size:           8
        .value_kind:     global_buffer
      - .address_space:  global
        .offset:         16
        .size:           8
        .value_kind:     global_buffer
      - .address_space:  global
        .offset:         24
        .size:           8
        .value_kind:     global_buffer
      - .address_space:  global
        .offset:         32
        .size:           8
        .value_kind:     global_buffer
      - .offset:         40
        .size:           4
        .value_kind:     by_value
      - .offset:         44
        .size:           4
        .value_kind:     by_value
      - .offset:         48
        .size:           1
        .value_kind:     by_value
      - .offset:         49
        .size:           1
        .value_kind:     by_value
      - .offset:         56
        .size:           4
        .value_kind:     hidden_block_count_x
      - .offset:         60
        .size:           4
        .value_kind:     hidden_block_count_y
      - .offset:         64
        .size:           4
        .value_kind:     hidden_block_count_z
      - .offset:         68
        .size:           2
        .value_kind:     hidden_group_size_x
      - .offset:         70
        .size:           2
        .value_kind:     hidden_group_size_y
      - .offset:         72
        .size:           2
        .value_kind:     hidden_group_size_z
      - .offset:         74
        .size:           2
        .value_kind:     hidden_remainder_x
      - .offset:         76
        .size:           2
        .value_kind:     hidden_remainder_y
      - .offset:         78
        .size:           2
        .value_kind:     hidden_remainder_z
      - .offset:         96
        .size:           8
        .value_kind:     hidden_global_offset_x
      - .offset:         104
        .size:           8
        .value_kind:     hidden_global_offset_y
      - .offset:         112
        .size:           8
        .value_kind:     hidden_global_offset_z
      - .offset:         120
        .size:           2
        .value_kind:     hidden_grid_dims
    .group_segment_fixed_size: 1024
    .kernarg_segment_align: 8
    .kernarg_segment_size: 312
    .language:       OpenCL C
    .language_version:
      - 2
      - 0
    .max_flat_workgroup_size: 128
    .name:           _ZN2at6native12_GLOBAL__N_138multilabel_margin_loss_backward_kernelIddEEvPT_PKS3_S6_PKlS6_iibb
    .private_segment_fixed_size: 0
    .sgpr_count:     31
    .sgpr_spill_count: 0
    .symbol:         _ZN2at6native12_GLOBAL__N_138multilabel_margin_loss_backward_kernelIddEEvPT_PKS3_S6_PKlS6_iibb.kd
    .uniform_work_group_size: 1
    .uses_dynamic_stack: false
    .vgpr_count:     20
    .vgpr_spill_count: 0
    .wavefront_size: 32
  - .args:
      - .address_space:  global
        .offset:         0
        .size:           8
        .value_kind:     global_buffer
      - .address_space:  global
        .offset:         8
        .size:           8
        .value_kind:     global_buffer
      - .address_space:  global
        .offset:         16
        .size:           8
        .value_kind:     global_buffer
      - .address_space:  global
        .offset:         24
        .size:           8
        .value_kind:     global_buffer
      - .address_space:  global
        .offset:         32
        .size:           8
        .value_kind:     global_buffer
      - .offset:         40
        .size:           4
        .value_kind:     by_value
      - .offset:         44
        .size:           4
        .value_kind:     by_value
      - .offset:         48
        .size:           1
        .value_kind:     by_value
      - .offset:         49
        .size:           1
        .value_kind:     by_value
      - .offset:         56
        .size:           4
        .value_kind:     hidden_block_count_x
      - .offset:         60
        .size:           4
        .value_kind:     hidden_block_count_y
      - .offset:         64
        .size:           4
        .value_kind:     hidden_block_count_z
      - .offset:         68
        .size:           2
        .value_kind:     hidden_group_size_x
      - .offset:         70
        .size:           2
        .value_kind:     hidden_group_size_y
      - .offset:         72
        .size:           2
        .value_kind:     hidden_group_size_z
      - .offset:         74
        .size:           2
        .value_kind:     hidden_remainder_x
      - .offset:         76
        .size:           2
        .value_kind:     hidden_remainder_y
      - .offset:         78
        .size:           2
        .value_kind:     hidden_remainder_z
      - .offset:         96
        .size:           8
        .value_kind:     hidden_global_offset_x
      - .offset:         104
        .size:           8
        .value_kind:     hidden_global_offset_y
      - .offset:         112
        .size:           8
        .value_kind:     hidden_global_offset_z
      - .offset:         120
        .size:           2
        .value_kind:     hidden_grid_dims
    .group_segment_fixed_size: 512
    .kernarg_segment_align: 8
    .kernarg_segment_size: 312
    .language:       OpenCL C
    .language_version:
      - 2
      - 0
    .max_flat_workgroup_size: 128
    .name:           _ZN2at6native12_GLOBAL__N_138multilabel_margin_loss_backward_kernelIffEEvPT_PKS3_S6_PKlS6_iibb
    .private_segment_fixed_size: 0
    .sgpr_count:     31
    .sgpr_spill_count: 0
    .symbol:         _ZN2at6native12_GLOBAL__N_138multilabel_margin_loss_backward_kernelIffEEvPT_PKS3_S6_PKlS6_iibb.kd
    .uniform_work_group_size: 1
    .uses_dynamic_stack: false
    .vgpr_count:     14
    .vgpr_spill_count: 0
    .wavefront_size: 32
  - .args:
      - .address_space:  global
        .offset:         0
        .size:           8
        .value_kind:     global_buffer
      - .address_space:  global
        .offset:         8
        .size:           8
        .value_kind:     global_buffer
      - .address_space:  global
        .offset:         16
        .size:           8
        .value_kind:     global_buffer
      - .address_space:  global
        .offset:         24
        .size:           8
        .value_kind:     global_buffer
      - .address_space:  global
        .offset:         32
        .size:           8
        .value_kind:     global_buffer
      - .offset:         40
        .size:           4
        .value_kind:     by_value
      - .offset:         44
        .size:           4
        .value_kind:     by_value
      - .offset:         48
        .size:           1
        .value_kind:     by_value
      - .offset:         49
        .size:           1
        .value_kind:     by_value
      - .offset:         56
        .size:           4
        .value_kind:     hidden_block_count_x
      - .offset:         60
        .size:           4
        .value_kind:     hidden_block_count_y
      - .offset:         64
        .size:           4
        .value_kind:     hidden_block_count_z
      - .offset:         68
        .size:           2
        .value_kind:     hidden_group_size_x
      - .offset:         70
        .size:           2
        .value_kind:     hidden_group_size_y
      - .offset:         72
        .size:           2
        .value_kind:     hidden_group_size_z
      - .offset:         74
        .size:           2
        .value_kind:     hidden_remainder_x
      - .offset:         76
        .size:           2
        .value_kind:     hidden_remainder_y
      - .offset:         78
        .size:           2
        .value_kind:     hidden_remainder_z
      - .offset:         96
        .size:           8
        .value_kind:     hidden_global_offset_x
      - .offset:         104
        .size:           8
        .value_kind:     hidden_global_offset_y
      - .offset:         112
        .size:           8
        .value_kind:     hidden_global_offset_z
      - .offset:         120
        .size:           2
        .value_kind:     hidden_grid_dims
    .group_segment_fixed_size: 512
    .kernarg_segment_align: 8
    .kernarg_segment_size: 312
    .language:       OpenCL C
    .language_version:
      - 2
      - 0
    .max_flat_workgroup_size: 128
    .name:           _ZN2at6native12_GLOBAL__N_138multilabel_margin_loss_backward_kernelIN3c104HalfEfEEvPT_PKS5_S8_PKlS8_iibb
    .private_segment_fixed_size: 0
    .sgpr_count:     29
    .sgpr_spill_count: 0
    .symbol:         _ZN2at6native12_GLOBAL__N_138multilabel_margin_loss_backward_kernelIN3c104HalfEfEEvPT_PKS5_S8_PKlS8_iibb.kd
    .uniform_work_group_size: 1
    .uses_dynamic_stack: false
    .vgpr_count:     16
    .vgpr_spill_count: 0
    .wavefront_size: 32
  - .args:
      - .address_space:  global
        .offset:         0
        .size:           8
        .value_kind:     global_buffer
      - .address_space:  global
        .offset:         8
        .size:           8
        .value_kind:     global_buffer
      - .address_space:  global
        .offset:         16
        .size:           8
        .value_kind:     global_buffer
      - .address_space:  global
        .offset:         24
        .size:           8
        .value_kind:     global_buffer
      - .address_space:  global
        .offset:         32
        .size:           8
        .value_kind:     global_buffer
      - .offset:         40
        .size:           4
        .value_kind:     by_value
      - .offset:         44
        .size:           4
        .value_kind:     by_value
      - .offset:         48
        .size:           1
        .value_kind:     by_value
      - .offset:         49
        .size:           1
        .value_kind:     by_value
      - .offset:         56
        .size:           4
        .value_kind:     hidden_block_count_x
      - .offset:         60
        .size:           4
        .value_kind:     hidden_block_count_y
      - .offset:         64
        .size:           4
        .value_kind:     hidden_block_count_z
      - .offset:         68
        .size:           2
        .value_kind:     hidden_group_size_x
      - .offset:         70
        .size:           2
        .value_kind:     hidden_group_size_y
      - .offset:         72
        .size:           2
        .value_kind:     hidden_group_size_z
      - .offset:         74
        .size:           2
        .value_kind:     hidden_remainder_x
      - .offset:         76
        .size:           2
        .value_kind:     hidden_remainder_y
      - .offset:         78
        .size:           2
        .value_kind:     hidden_remainder_z
      - .offset:         96
        .size:           8
        .value_kind:     hidden_global_offset_x
      - .offset:         104
        .size:           8
        .value_kind:     hidden_global_offset_y
      - .offset:         112
        .size:           8
        .value_kind:     hidden_global_offset_z
      - .offset:         120
        .size:           2
        .value_kind:     hidden_grid_dims
    .group_segment_fixed_size: 512
    .kernarg_segment_align: 8
    .kernarg_segment_size: 312
    .language:       OpenCL C
    .language_version:
      - 2
      - 0
    .max_flat_workgroup_size: 128
    .name:           _ZN2at6native12_GLOBAL__N_138multilabel_margin_loss_backward_kernelIN3c108BFloat16EfEEvPT_PKS5_S8_PKlS8_iibb
    .private_segment_fixed_size: 0
    .sgpr_count:     31
    .sgpr_spill_count: 0
    .symbol:         _ZN2at6native12_GLOBAL__N_138multilabel_margin_loss_backward_kernelIN3c108BFloat16EfEEvPT_PKS5_S8_PKlS8_iibb.kd
    .uniform_work_group_size: 1
    .uses_dynamic_stack: false
    .vgpr_count:     14
    .vgpr_spill_count: 0
    .wavefront_size: 32
amdhsa.target:   amdgcn-amd-amdhsa--gfx1250
amdhsa.version:
  - 1
  - 2
...

	.end_amdgpu_metadata
